;; amdgpu-corpus repo=ROCm/rocFFT kind=compiled arch=gfx1201 opt=O3
	.text
	.amdgcn_target "amdgcn-amd-amdhsa--gfx1201"
	.amdhsa_code_object_version 6
	.protected	bluestein_single_back_len2025_dim1_sp_op_CI_CI ; -- Begin function bluestein_single_back_len2025_dim1_sp_op_CI_CI
	.globl	bluestein_single_back_len2025_dim1_sp_op_CI_CI
	.p2align	8
	.type	bluestein_single_back_len2025_dim1_sp_op_CI_CI,@function
bluestein_single_back_len2025_dim1_sp_op_CI_CI: ; @bluestein_single_back_len2025_dim1_sp_op_CI_CI
; %bb.0:
	s_load_b128 s[12:15], s[0:1], 0x28
	v_mul_u32_u24_e32 v1, 0x1e6, v0
	s_mov_b32 s2, exec_lo
	v_mov_b32_e32 v151, 0
	s_delay_alu instid0(VALU_DEP_2) | instskip(NEXT) | instid1(VALU_DEP_1)
	v_lshrrev_b32_e32 v1, 16, v1
	v_add_nc_u32_e32 v150, ttmp9, v1
	s_wait_kmcnt 0x0
	s_delay_alu instid0(VALU_DEP_1)
	v_cmpx_gt_u64_e64 s[12:13], v[150:151]
	s_cbranch_execz .LBB0_2
; %bb.1:
	s_clause 0x1
	s_load_b128 s[4:7], s[0:1], 0x18
	s_load_b128 s[8:11], s[0:1], 0x0
	v_mul_lo_u16 v1, 0x87, v1
	s_movk_i32 s2, 0xda08
	s_mov_b32 s3, -1
	s_delay_alu instid0(VALU_DEP_1) | instskip(NEXT) | instid1(VALU_DEP_1)
	v_sub_nc_u16 v70, v0, v1
	v_and_b32_e32 v152, 0xffff, v70
	v_mul_lo_u16 v31, v70, 3
	v_and_b32_e32 v30, 0xff, v70
	s_wait_kmcnt 0x0
	s_load_b128 s[16:19], s[4:5], 0x0
	s_wait_kmcnt 0x0
	v_mad_co_u64_u32 v[0:1], null, s18, v150, 0
	v_mad_co_u64_u32 v[2:3], null, s16, v152, 0
	s_mul_u64 s[4:5], s[16:17], 0x1518
	s_mul_u64 s[12:13], s[16:17], s[2:3]
	s_delay_alu instid0(VALU_DEP_1) | instskip(NEXT) | instid1(VALU_DEP_1)
	v_mad_co_u64_u32 v[4:5], null, s19, v150, v[1:2]
	v_mov_b32_e32 v1, v4
	s_delay_alu instid0(VALU_DEP_3)
	v_mad_co_u64_u32 v[5:6], null, s17, v152, v[3:4]
	v_lshlrev_b32_e32 v151, 3, v152
	s_clause 0x2
	global_load_b64 v[124:125], v151, s[8:9] offset:10800
	global_load_b64 v[122:123], v151, s[8:9] offset:11880
	;; [unrolled: 1-line block ×3, first 2 shown]
	v_mov_b32_e32 v3, v5
	v_lshlrev_b64_e32 v[0:1], 3, v[0:1]
	s_clause 0x9
	global_load_b64 v[134:135], v151, s[8:9]
	global_load_b64 v[132:133], v151, s[8:9] offset:1080
	global_load_b64 v[130:131], v151, s[8:9] offset:2160
	;; [unrolled: 1-line block ×9, first 2 shown]
	v_lshlrev_b64_e32 v[2:3], 3, v[2:3]
	v_add_co_u32 v84, null, 0x21c, v152
	v_add_co_u32 v0, vcc_lo, s14, v0
	v_add_co_ci_u32_e32 v1, vcc_lo, s15, v1, vcc_lo
	v_add_co_u32 v72, null, 0x10e, v152
	s_delay_alu instid0(VALU_DEP_3) | instskip(SKIP_1) | instid1(VALU_DEP_3)
	v_add_co_u32 v0, vcc_lo, v0, v2
	s_wait_alu 0xfffd
	v_add_co_ci_u32_e32 v1, vcc_lo, v1, v3, vcc_lo
	v_add_co_u32 v80, null, 0x195, v152
	s_delay_alu instid0(VALU_DEP_3) | instskip(SKIP_1) | instid1(VALU_DEP_3)
	v_add_co_u32 v2, vcc_lo, v0, s4
	s_wait_alu 0xfffd
	v_add_co_ci_u32_e32 v3, vcc_lo, s5, v1, vcc_lo
	global_load_b64 v[18:19], v[0:1], off
	v_add_co_u32 v4, vcc_lo, v2, s4
	global_load_b64 v[20:21], v[2:3], off
	s_wait_alu 0xfffd
	v_add_co_ci_u32_e32 v5, vcc_lo, s5, v3, vcc_lo
	s_wait_alu 0xfffe
	v_add_co_u32 v6, vcc_lo, v4, s12
	v_and_b32_e32 v32, 0xffff, v31
	s_wait_alu 0xfffd
	v_add_co_ci_u32_e32 v7, vcc_lo, s13, v5, vcc_lo
	s_delay_alu instid0(VALU_DEP_3) | instskip(SKIP_2) | instid1(VALU_DEP_3)
	v_add_co_u32 v0, vcc_lo, v6, s4
	v_mul_lo_u16 v31, 0xab, v30
	s_wait_alu 0xfffd
	v_add_co_ci_u32_e32 v1, vcc_lo, s5, v7, vcc_lo
	s_clause 0x2
	global_load_b64 v[24:25], v[4:5], off
	global_load_b64 v[22:23], v[6:7], off
	;; [unrolled: 1-line block ×3, first 2 shown]
	v_add_co_u32 v2, vcc_lo, v0, s4
	s_wait_alu 0xfffd
	v_add_co_ci_u32_e32 v3, vcc_lo, s5, v1, vcc_lo
	v_lshrrev_b16 v38, 9, v31
	s_delay_alu instid0(VALU_DEP_3) | instskip(SKIP_1) | instid1(VALU_DEP_3)
	v_add_co_u32 v0, vcc_lo, v2, s12
	s_wait_alu 0xfffd
	v_add_co_ci_u32_e32 v1, vcc_lo, s13, v3, vcc_lo
	global_load_b64 v[10:11], v[2:3], off
	v_add_co_u32 v2, vcc_lo, v0, s4
	s_wait_alu 0xfffd
	v_add_co_ci_u32_e32 v3, vcc_lo, s5, v1, vcc_lo
	global_load_b64 v[8:9], v[0:1], off
	;; [unrolled: 4-line block ×6, first 2 shown]
	v_add_co_u32 v12, vcc_lo, v2, s12
	s_wait_alu 0xfffd
	v_add_co_ci_u32_e32 v13, vcc_lo, s13, v3, vcc_lo
	v_and_b32_e32 v31, 0xffff, v84
	s_delay_alu instid0(VALU_DEP_3) | instskip(SKIP_1) | instid1(VALU_DEP_3)
	v_add_co_u32 v26, vcc_lo, v12, s4
	s_wait_alu 0xfffd
	v_add_co_ci_u32_e32 v27, vcc_lo, s5, v13, vcc_lo
	global_load_b64 v[2:3], v[2:3], off
	v_add_co_u32 v28, vcc_lo, v26, s4
	v_add_co_u32 v71, s4, 0x87, v152
	global_load_b64 v[12:13], v[12:13], off
	s_wait_alu 0xfffd
	v_add_co_ci_u32_e32 v29, vcc_lo, s5, v27, vcc_lo
	v_mul_u32_u24_e32 v34, 3, v71
	v_and_b32_e32 v39, 0xffff, v71
	v_mul_u32_u24_e32 v35, 3, v72
	v_mul_u32_u24_e32 v36, 3, v80
	v_and_b32_e32 v40, 0xffff, v72
	v_lshlrev_b32_e32 v112, 3, v34
	v_mul_u32_u24_e32 v34, 0xaaab, v39
	v_lshlrev_b32_e32 v108, 3, v32
	v_mul_u32_u24_e32 v37, 3, v84
	v_and_b32_e32 v32, 0xffff, v80
	v_lshlrev_b32_e32 v111, 3, v35
	v_lshrrev_b32_e32 v41, 17, v34
	v_lshlrev_b32_e32 v110, 3, v36
	v_mul_u32_u24_e32 v35, 0xaaab, v40
	v_mul_lo_u16 v36, v38, 3
	v_lshlrev_b32_e32 v109, 3, v37
	v_mul_u32_u24_e32 v37, 0xaaab, v32
	s_wait_alu 0xf1ff
	v_add_co_ci_u32_e64 v33, null, 0, 0, s4
	v_lshrrev_b32_e32 v42, 17, v35
	v_sub_nc_u16 v35, v70, v36
	v_mul_lo_u16 v36, v41, 3
	v_lshrrev_b32_e32 v43, 17, v37
	v_cmp_gt_u16_e32 vcc_lo, 0x5a, v70
	v_mul_lo_u16 v37, v42, 3
	s_delay_alu instid0(VALU_DEP_4) | instskip(NEXT) | instid1(VALU_DEP_4)
	v_sub_nc_u16 v47, v71, v36
	v_mul_lo_u16 v46, v43, 3
	s_delay_alu instid0(VALU_DEP_3) | instskip(NEXT) | instid1(VALU_DEP_3)
	v_sub_nc_u16 v48, v72, v37
	v_lshlrev_b16 v49, 1, v47
	s_wait_loadcnt 0xb
	v_mul_f32_e32 v37, v20, v145
	v_mul_f32_e32 v36, v21, v145
	s_delay_alu instid0(VALU_DEP_2) | instskip(NEXT) | instid1(VALU_DEP_2)
	v_fma_f32 v37, v21, v144, -v37
	v_fmac_f32_e32 v36, v20, v144
	s_wait_loadcnt 0x9
	v_mul_f32_e32 v50, v22, v133
	v_mul_u32_u24_e32 v34, 0xaaab, v31
	v_mul_f32_e32 v20, v23, v133
	v_mul_u32_u24_e32 v31, 0x91a3, v31
	s_delay_alu instid0(VALU_DEP_4) | instskip(NEXT) | instid1(VALU_DEP_4)
	v_fma_f32 v21, v23, v132, -v50
	v_lshrrev_b32_e32 v44, 17, v34
	s_delay_alu instid0(VALU_DEP_4)
	v_fmac_f32_e32 v20, v22, v132
	v_mul_f32_e32 v34, v19, v135
	global_load_b64 v[146:147], v151, s[8:9] offset:9720
	global_load_b64 v[26:27], v[26:27], off
	global_load_b64 v[148:149], v151, s[8:9] offset:15120
	global_load_b64 v[28:29], v[28:29], off
	v_add_nc_u32_e32 v153, 0x2000, v151
	v_add_nc_u32_e32 v157, 0x2800, v151
	s_wait_loadcnt 0xc
	v_mul_f32_e32 v22, v17, v143
	v_and_b32_e32 v45, 0xff, v35
	v_mul_f32_e32 v35, v18, v135
	v_add_nc_u32_e32 v156, 0x1800, v151
	v_dual_fmac_f32 v34, v18, v134 :: v_dual_add_nc_u32 v159, 0x3400, v151
	v_dual_mul_f32 v18, v25, v125 :: v_dual_add_nc_u32 v155, 0x3000, v151
	s_delay_alu instid0(VALU_DEP_4)
	v_fma_f32 v35, v19, v134, -v35
	v_mul_f32_e32 v19, v24, v125
	s_load_b128 s[4:7], s[6:7], 0x0
	v_mul_f32_e32 v23, v16, v143
	v_fmac_f32_e32 v18, v24, v124
	v_fmac_f32_e32 v22, v16, v142
	v_fma_f32 v19, v25, v124, -v19
	ds_store_b64 v151, v[36:37] offset:5400
	ds_store_b64 v151, v[18:19] offset:10800
	s_wait_loadcnt 0xb
	v_mul_f32_e32 v18, v11, v123
	v_fma_f32 v23, v17, v142, -v23
	v_mul_f32_e32 v17, v10, v123
	ds_store_2addr_b64 v151, v[34:35], v[20:21] offset1:135
	s_wait_loadcnt 0xa
	v_dual_mul_f32 v21, v8, v131 :: v_dual_fmac_f32 v18, v10, v122
	v_mul_f32_e32 v10, v9, v131
	s_wait_loadcnt 0x9
	v_mul_f32_e32 v16, v15, v121
	v_mul_f32_e32 v20, v14, v121
	v_fma_f32 v19, v11, v122, -v17
	v_fma_f32 v11, v9, v130, -v21
	v_fmac_f32_e32 v10, v8, v130
	s_wait_loadcnt 0x8
	v_mul_f32_e32 v8, v5, v139
	v_mul_f32_e32 v9, v4, v139
	v_add_nc_u32_e32 v160, 0x2c00, v151
	v_fmac_f32_e32 v16, v14, v120
	v_fma_f32 v17, v15, v120, -v20
	s_wait_loadcnt 0x7
	v_mul_f32_e32 v14, v7, v129
	v_dual_mul_f32 v15, v6, v129 :: v_dual_fmac_f32 v8, v4, v138
	s_wait_loadcnt 0x6
	v_mul_f32_e32 v4, v1, v127
	v_fma_f32 v9, v5, v138, -v9
	v_mul_f32_e32 v5, v0, v127
	v_add_nc_u32_e32 v154, 0x800, v151
	v_fmac_f32_e32 v14, v6, v128
	v_fma_f32 v15, v7, v128, -v15
	s_wait_loadcnt 0x5
	v_mul_f32_e32 v6, v3, v137
	v_dual_mul_f32 v7, v2, v137 :: v_dual_fmac_f32 v4, v0, v126
	s_wait_loadcnt 0x4
	v_mul_f32_e32 v0, v13, v141
	v_add_nc_u32_e32 v158, 0x1000, v151
	v_fma_f32 v5, v1, v126, -v5
	v_dual_mul_f32 v1, v12, v141 :: v_dual_fmac_f32 v6, v2, v136
	v_fma_f32 v7, v3, v136, -v7
	ds_store_2addr_b64 v156, v[22:23], v[16:17] offset0:42 offset1:177
	v_fmac_f32_e32 v0, v12, v140
	v_fma_f32 v1, v13, v140, -v1
	v_lshlrev_b16 v17, 1, v48
	v_sub_nc_u16 v34, v80, v46
	v_lshlrev_b32_e32 v35, 4, v45
	v_mul_u32_u24_e32 v32, 0x91a3, v32
	s_wait_kmcnt 0x0
	s_mul_u64 s[2:3], s[4:5], s[2:3]
	v_and_b32_e32 v46, 0xffff, v17
	v_lshlrev_b16 v37, 1, v34
	s_wait_loadcnt 0x2
	v_mul_f32_e32 v2, v27, v147
	s_wait_loadcnt 0x0
	v_dual_mul_f32 v3, v26, v147 :: v_dual_mul_f32 v12, v29, v149
	v_mul_f32_e32 v16, v28, v149
	s_delay_alu instid0(VALU_DEP_3) | instskip(NEXT) | instid1(VALU_DEP_3)
	v_fmac_f32_e32 v2, v26, v146
	v_fma_f32 v3, v27, v146, -v3
	s_delay_alu instid0(VALU_DEP_4) | instskip(NEXT) | instid1(VALU_DEP_4)
	v_fmac_f32_e32 v12, v28, v148
	v_fma_f32 v13, v29, v148, -v16
	ds_store_2addr_b64 v160, v[18:19], v[8:9] offset0:77 offset1:212
	ds_store_2addr_b64 v154, v[10:11], v[14:15] offset0:14 offset1:149
	ds_store_b64 v151, v[0:1] offset:4320
	ds_store_2addr_b64 v153, v[4:5], v[2:3] offset0:56 offset1:191
	ds_store_2addr_b64 v159, v[6:7], v[12:13] offset0:91 offset1:226
	global_wb scope:SCOPE_SE
	s_wait_dscnt 0x0
	s_barrier_signal -1
	s_barrier_wait -1
	global_inv scope:SCOPE_SE
	ds_load_2addr_b64 v[0:3], v151 offset1:135
	ds_load_2addr_b64 v[4:7], v158 offset0:28 offset1:163
	ds_load_2addr_b64 v[8:11], v157 offset0:70 offset1:205
	v_mul_lo_u16 v16, v44, 3
	v_and_b32_e32 v18, 0xffff, v49
	ds_load_2addr_b64 v[12:15], v156 offset0:42 offset1:177
	v_sub_nc_u16 v36, v84, v16
	v_lshlrev_b32_e32 v49, 3, v18
	ds_load_2addr_b64 v[16:19], v154 offset0:14 offset1:149
	ds_load_2addr_b64 v[20:23], v155 offset0:84 offset1:219
	;; [unrolled: 1-line block ×3, first 2 shown]
	ds_load_b64 v[28:29], v151 offset:15120
	global_wb scope:SCOPE_SE
	s_wait_dscnt 0x0
	s_barrier_signal -1
	s_barrier_wait -1
	global_inv scope:SCOPE_SE
	v_add_f32_e32 v53, v1, v7
	v_add_f32_e32 v51, v6, v8
	v_sub_f32_e32 v55, v6, v8
	v_add_f32_e32 v59, v3, v13
	v_add_f32_e32 v57, v12, v10
	v_dual_add_f32 v63, v17, v15 :: v_dual_add_f32 v56, v2, v12
	v_dual_sub_f32 v66, v25, v23 :: v_dual_add_f32 v67, v19, v25
	v_add_f32_e32 v25, v25, v23
	v_sub_f32_e32 v58, v13, v11
	v_dual_add_f32 v13, v13, v11 :: v_dual_add_f32 v50, v0, v6
	v_add_f32_e32 v74, v5, v27
	v_dual_sub_f32 v60, v12, v10 :: v_dual_sub_f32 v73, v27, v29
	s_delay_alu instid0(VALU_DEP_3)
	v_fmac_f32_e32 v3, -0.5, v13
	v_sub_f32_e32 v62, v15, v21
	v_add_f32_e32 v15, v15, v21
	v_add_f32_e32 v27, v27, v29
	v_sub_f32_e32 v75, v26, v28
	v_fmac_f32_e32 v19, -0.5, v25
	v_add_f32_e32 v61, v14, v20
	v_fma_f32 v13, -0.5, v15, v17
	v_add_f32_e32 v17, v74, v29
	v_dual_add_f32 v54, v7, v9 :: v_dual_fmac_f32 v5, -0.5, v27
	v_dual_sub_f32 v68, v24, v22 :: v_dual_add_f32 v15, v67, v23
	v_fmamk_f32 v23, v60, 0xbf5db3d7, v3
	s_delay_alu instid0(VALU_DEP_3) | instskip(NEXT) | instid1(VALU_DEP_4)
	v_fma_f32 v1, -0.5, v54, v1
	v_dual_fmamk_f32 v29, v75, 0xbf5db3d7, v5 :: v_dual_add_f32 v12, v16, v14
	v_dual_sub_f32 v52, v7, v9 :: v_dual_add_f32 v65, v24, v22
	v_add_f32_e32 v69, v26, v28
	v_fma_f32 v0, -0.5, v51, v0
	v_dual_sub_f32 v64, v14, v20 :: v_dual_fmamk_f32 v27, v68, 0xbf5db3d7, v19
	v_add_f32_e32 v14, v18, v24
	v_fma_f32 v2, -0.5, v57, v2
	v_dual_add_f32 v24, v4, v26 :: v_dual_fmac_f32 v19, 0x3f5db3d7, v68
	v_dual_add_f32 v6, v50, v8 :: v_dual_fmac_f32 v5, 0x3f5db3d7, v75
	v_add_f32_e32 v7, v53, v9
	v_add_f32_e32 v9, v59, v11
	v_dual_add_f32 v11, v63, v21 :: v_dual_add_f32 v8, v56, v10
	v_dual_fmamk_f32 v21, v55, 0xbf5db3d7, v1 :: v_dual_add_f32 v10, v12, v20
	v_fma_f32 v12, -0.5, v61, v16
	v_fma_f32 v18, -0.5, v65, v18
	;; [unrolled: 1-line block ×3, first 2 shown]
	v_dual_fmac_f32 v1, 0x3f5db3d7, v55 :: v_dual_fmamk_f32 v20, v52, 0x3f5db3d7, v0
	v_dual_fmac_f32 v0, 0xbf5db3d7, v52 :: v_dual_fmamk_f32 v25, v64, 0xbf5db3d7, v13
	v_add_f32_e32 v14, v14, v22
	v_fmamk_f32 v22, v58, 0x3f5db3d7, v2
	v_fmac_f32_e32 v2, 0xbf5db3d7, v58
	v_fmac_f32_e32 v3, 0x3f5db3d7, v60
	v_add_f32_e32 v16, v24, v28
	v_fmamk_f32 v24, v62, 0x3f5db3d7, v12
	v_fmac_f32_e32 v12, 0xbf5db3d7, v62
	v_dual_fmac_f32 v13, 0x3f5db3d7, v64 :: v_dual_fmamk_f32 v26, v66, 0x3f5db3d7, v18
	v_fmac_f32_e32 v18, 0xbf5db3d7, v66
	v_fmamk_f32 v28, v73, 0x3f5db3d7, v4
	v_fmac_f32_e32 v4, 0xbf5db3d7, v73
	ds_store_2addr_b64 v108, v[6:7], v[20:21] offset1:1
	ds_store_b64 v108, v[0:1] offset:16
	ds_store_2addr_b64 v112, v[8:9], v[22:23] offset1:1
	ds_store_b64 v112, v[2:3] offset:16
	;; [unrolled: 2-line block ×5, first 2 shown]
	global_wb scope:SCOPE_SE
	s_wait_dscnt 0x0
	s_barrier_signal -1
	s_barrier_wait -1
	global_inv scope:SCOPE_SE
	global_load_b128 v[88:91], v35, s[10:11]
	v_lshlrev_b16 v0, 1, v36
	v_lshlrev_b32_e32 v2, 3, v46
	v_and_b32_e32 v1, 0xffff, v37
	global_load_b128 v[92:95], v49, s[10:11]
	v_and_b32_e32 v3, 0xffff, v38
	global_load_b128 v[100:103], v2, s[10:11]
	v_and_b32_e32 v0, 0xffff, v0
	v_lshlrev_b32_e32 v1, 3, v1
	v_mul_u32_u24_e32 v2, 0xe38f, v40
	s_delay_alu instid0(VALU_DEP_3)
	v_lshlrev_b32_e32 v0, 3, v0
	s_clause 0x1
	global_load_b128 v[104:107], v1, s[10:11]
	global_load_b128 v[96:99], v0, s[10:11]
	v_mul_lo_u16 v0, v30, 57
	v_mul_u32_u24_e32 v1, 0xe38f, v39
	v_lshrrev_b32_e32 v68, 19, v2
	s_delay_alu instid0(VALU_DEP_3) | instskip(NEXT) | instid1(VALU_DEP_3)
	v_lshrrev_b16 v37, 9, v0
	v_lshrrev_b32_e32 v38, 19, v1
	v_mul_u32_u24_e32 v1, 9, v3
	s_delay_alu instid0(VALU_DEP_4) | instskip(SKIP_2) | instid1(VALU_DEP_4)
	v_mul_lo_u16 v2, v68, 9
	v_mad_u16 v3, v44, 9, v36
	v_mul_lo_u16 v0, v37, 9
	v_add_lshl_u32 v166, v1, v45, 3
	s_delay_alu instid0(VALU_DEP_4) | instskip(SKIP_1) | instid1(VALU_DEP_4)
	v_sub_nc_u16 v74, v72, v2
	v_mad_u16 v1, v42, 9, v48
	v_sub_nc_u16 v0, v70, v0
	v_mad_u16 v2, v43, 9, v34
	v_and_b32_e32 v13, 0xffff, v3
	v_lshlrev_b16 v5, 5, v74
	v_and_b32_e32 v8, 0xffff, v1
	v_and_b32_e32 v69, 0xff, v0
	v_mul_lo_u16 v0, v38, 9
	v_and_b32_e32 v12, 0xffff, v2
	v_and_b32_e32 v36, 0xffff, v5
	s_delay_alu instid0(VALU_DEP_4) | instskip(NEXT) | instid1(VALU_DEP_4)
	v_lshlrev_b32_e32 v49, 5, v69
	v_sub_nc_u16 v73, v71, v0
	v_mad_u16 v0, v41, 9, v47
	v_lshlrev_b32_e32 v171, 3, v12
	s_delay_alu instid0(VALU_DEP_3) | instskip(NEXT) | instid1(VALU_DEP_3)
	v_lshlrev_b16 v4, 5, v73
	v_and_b32_e32 v6, 0xffff, v0
	ds_load_2addr_b64 v[0:3], v158 offset0:28 offset1:163
	s_wait_loadcnt_dscnt 0x400
	v_dual_mul_f32 v42, v2, v89 :: v_dual_lshlrev_b32 v169, 3, v6
	v_mul_f32_e32 v41, v3, v89
	s_delay_alu instid0(VALU_DEP_2)
	v_fmac_f32_e32 v42, v3, v88
	v_and_b32_e32 v16, 0xffff, v4
	ds_load_2addr_b64 v[4:7], v157 offset0:70 offset1:205
	v_fma_f32 v2, v2, v88, -v41
	v_add_co_u32 v28, s12, s10, v16
	s_wait_alu 0xf1ff
	v_add_co_ci_u32_e64 v29, null, s11, 0, s12
	s_wait_dscnt 0x0
	v_mul_f32_e32 v43, v5, v91
	v_mul_f32_e32 v44, v4, v91
	s_wait_loadcnt 0x3
	v_mul_f32_e32 v47, v7, v95
	s_delay_alu instid0(VALU_DEP_3)
	v_fma_f32 v4, v4, v90, -v43
	v_lshlrev_b32_e32 v168, 3, v13
	ds_load_2addr_b64 v[12:15], v155 offset0:84 offset1:219
	s_wait_loadcnt_dscnt 0x100
	v_mul_f32_e32 v57, v14, v107
	v_mul_f32_e32 v56, v15, v107
	;; [unrolled: 1-line block ×3, first 2 shown]
	s_delay_alu instid0(VALU_DEP_3)
	v_fmac_f32_e32 v57, v15, v106
	v_fmac_f32_e32 v44, v5, v90
	v_fma_f32 v5, v6, v94, -v47
	v_lshlrev_b32_e32 v170, 3, v8
	ds_load_2addr_b64 v[8:11], v156 offset0:42 offset1:177
	ds_load_2addr_b64 v[16:19], v153 offset0:56 offset1:191
	ds_load_2addr_b64 v[20:23], v151 offset1:135
	ds_load_2addr_b64 v[24:27], v154 offset0:14 offset1:149
	ds_load_b64 v[34:35], v151 offset:15120
	v_mul_f32_e32 v48, v6, v95
	v_add_f32_e32 v15, v42, v44
	v_fmac_f32_e32 v53, v13, v102
	global_wb scope:SCOPE_SE
	s_wait_loadcnt_dscnt 0x0
	s_barrier_signal -1
	s_barrier_wait -1
	global_inv scope:SCOPE_SE
	v_mul_f32_e32 v59, v18, v97
	v_mul_f32_e32 v55, v16, v105
	v_dual_mul_f32 v50, v11, v101 :: v_dual_mul_f32 v61, v34, v99
	v_mul_f32_e32 v46, v8, v93
	v_mul_f32_e32 v51, v10, v101
	v_fmac_f32_e32 v59, v19, v96
	s_delay_alu instid0(VALU_DEP_4)
	v_fma_f32 v6, v10, v100, -v50
	v_fmac_f32_e32 v61, v35, v98
	v_mul_f32_e32 v45, v9, v93
	v_dual_mul_f32 v54, v17, v105 :: v_dual_fmac_f32 v51, v11, v100
	v_dual_mul_f32 v58, v19, v97 :: v_dual_fmac_f32 v55, v17, v104
	v_sub_f32_e32 v17, v42, v44
	v_dual_fmac_f32 v46, v9, v92 :: v_dual_add_f32 v43, v24, v6
	v_dual_fmac_f32 v48, v7, v94 :: v_dual_add_f32 v65, v1, v59
	v_sub_f32_e32 v64, v59, v61
	v_dual_add_f32 v59, v59, v61 :: v_dual_mul_f32 v52, v13, v103
	s_delay_alu instid0(VALU_DEP_3)
	v_add_f32_e32 v41, v46, v48
	v_fma_f32 v3, v8, v92, -v45
	v_add_f32_e32 v47, v25, v51
	v_fma_f32 v9, v18, v96, -v58
	v_mul_f32_e32 v60, v35, v99
	v_fma_f32 v8, v12, v102, -v52
	v_fma_f32 v12, v14, v106, -v56
	v_add_f32_e32 v11, v2, v4
	v_add_f32_e32 v19, v3, v5
	v_fma_f32 v14, v34, v98, -v60
	v_add_f32_e32 v35, v23, v46
	v_add_f32_e32 v45, v6, v8
	v_fma_f32 v7, v16, v104, -v54
	v_fmac_f32_e32 v23, -0.5, v41
	v_add_f32_e32 v63, v9, v14
	v_dual_add_f32 v13, v21, v42 :: v_dual_sub_f32 v42, v3, v5
	v_dual_fmac_f32 v1, -0.5, v59 :: v_dual_sub_f32 v56, v55, v57
	v_add_f32_e32 v58, v27, v55
	v_dual_add_f32 v55, v55, v57 :: v_dual_add_f32 v10, v20, v2
	v_sub_f32_e32 v18, v2, v4
	v_add_f32_e32 v16, v22, v3
	s_delay_alu instid0(VALU_DEP_3)
	v_dual_sub_f32 v34, v46, v48 :: v_dual_fmac_f32 v27, -0.5, v55
	v_add_f32_e32 v52, v26, v7
	v_sub_f32_e32 v60, v7, v12
	v_add_f32_e32 v62, v0, v9
	v_sub_f32_e32 v66, v9, v14
	v_fma_f32 v22, -0.5, v19, v22
	v_add_f32_e32 v9, v47, v53
	v_fmamk_f32 v19, v42, 0xbf5db3d7, v23
	v_dual_fmac_f32 v23, 0x3f5db3d7, v42 :: v_dual_add_f32 v54, v7, v12
	v_fma_f32 v7, -0.5, v15, v21
	v_sub_f32_e32 v46, v51, v53
	v_dual_add_f32 v50, v51, v53 :: v_dual_sub_f32 v51, v6, v8
	v_fma_f32 v6, -0.5, v11, v20
	v_add_f32_e32 v3, v13, v44
	v_add_f32_e32 v2, v10, v4
	;; [unrolled: 1-line block ×3, first 2 shown]
	v_fma_f32 v10, -0.5, v45, v24
	v_fma_f32 v0, -0.5, v63, v0
	v_fmamk_f32 v16, v17, 0x3f5db3d7, v6
	v_dual_fmac_f32 v6, 0xbf5db3d7, v17 :: v_dual_fmamk_f32 v17, v18, 0xbf5db3d7, v7
	v_fmac_f32_e32 v7, 0x3f5db3d7, v18
	v_fma_f32 v11, -0.5, v50, v25
	v_add_f32_e32 v13, v58, v57
	v_fma_f32 v26, -0.5, v54, v26
	v_dual_add_f32 v5, v35, v48 :: v_dual_fmamk_f32 v18, v34, 0x3f5db3d7, v22
	v_fmac_f32_e32 v22, 0xbf5db3d7, v34
	v_add_f32_e32 v8, v43, v8
	v_fmamk_f32 v20, v46, 0x3f5db3d7, v10
	v_fmamk_f32 v21, v51, 0xbf5db3d7, v11
	v_fmac_f32_e32 v11, 0x3f5db3d7, v51
	v_fmamk_f32 v25, v60, 0xbf5db3d7, v27
	v_fmamk_f32 v34, v64, 0x3f5db3d7, v0
	v_fmac_f32_e32 v0, 0xbf5db3d7, v64
	v_dual_add_f32 v14, v62, v14 :: v_dual_add_f32 v15, v65, v61
	v_add_f32_e32 v12, v52, v12
	v_fmac_f32_e32 v10, 0xbf5db3d7, v46
	v_fmamk_f32 v24, v56, 0x3f5db3d7, v26
	v_fmac_f32_e32 v26, 0xbf5db3d7, v56
	v_fmac_f32_e32 v27, 0x3f5db3d7, v60
	v_fmamk_f32 v35, v66, 0xbf5db3d7, v1
	v_fmac_f32_e32 v1, 0x3f5db3d7, v66
	ds_store_2addr_b64 v166, v[2:3], v[16:17] offset1:3
	ds_store_b64 v166, v[6:7] offset:48
	ds_store_2addr_b64 v169, v[4:5], v[18:19] offset1:3
	ds_store_b64 v169, v[22:23] offset:48
	;; [unrolled: 2-line block ×5, first 2 shown]
	v_add_co_u32 v0, s12, s10, v36
	s_wait_alu 0xf1ff
	v_add_co_ci_u32_e64 v1, null, s11, 0, s12
	global_wb scope:SCOPE_SE
	s_wait_dscnt 0x0
	s_barrier_signal -1
	s_barrier_wait -1
	global_inv scope:SCOPE_SE
	s_clause 0x5
	global_load_b128 v[44:47], v49, s[10:11] offset:48
	global_load_b128 v[52:55], v49, s[10:11] offset:64
	global_load_b128 v[48:51], v[28:29], off offset:48
	global_load_b128 v[60:63], v[28:29], off offset:64
	;; [unrolled: 1-line block ×4, first 2 shown]
	v_mul_lo_u16 v0, 0x6d, v30
	v_mul_u32_u24_e32 v2, 0x2d83, v39
	v_mul_u32_u24_e32 v3, 0x2d83, v40
	s_delay_alu instid0(VALU_DEP_3) | instskip(NEXT) | instid1(VALU_DEP_3)
	v_lshrrev_b16 v0, 8, v0
	v_lshrrev_b32_e32 v24, 19, v2
	s_delay_alu instid0(VALU_DEP_3) | instskip(NEXT) | instid1(VALU_DEP_3)
	v_lshrrev_b32_e32 v25, 19, v3
	v_sub_nc_u16 v1, v70, v0
	s_delay_alu instid0(VALU_DEP_3) | instskip(NEXT) | instid1(VALU_DEP_2)
	v_mul_lo_u16 v3, v24, 45
	v_lshrrev_b16 v1, 1, v1
	s_delay_alu instid0(VALU_DEP_2) | instskip(NEXT) | instid1(VALU_DEP_2)
	v_sub_nc_u16 v28, v71, v3
	v_and_b32_e32 v1, 0x7f, v1
	s_delay_alu instid0(VALU_DEP_2) | instskip(NEXT) | instid1(VALU_DEP_2)
	v_mad_u16 v24, 0xe1, v24, v28
	v_add_nc_u16 v0, v1, v0
	v_mul_lo_u16 v1, v25, 45
	s_delay_alu instid0(VALU_DEP_2) | instskip(SKIP_1) | instid1(VALU_DEP_3)
	v_lshrrev_b16 v26, 5, v0
	v_mad_u16 v0, v38, 45, v73
	v_sub_nc_u16 v29, v72, v1
	v_mad_u16 v1, v68, 45, v74
	s_delay_alu instid0(VALU_DEP_4) | instskip(NEXT) | instid1(VALU_DEP_4)
	v_mul_lo_u16 v3, v26, 45
	v_and_b32_e32 v4, 0xffff, v0
	s_delay_alu instid0(VALU_DEP_4) | instskip(NEXT) | instid1(VALU_DEP_4)
	v_lshlrev_b16 v30, 5, v29
	v_and_b32_e32 v8, 0xffff, v1
	v_mad_u16 v25, 0xe1, v25, v29
	v_sub_nc_u16 v9, v70, v3
	v_lshlrev_b32_e32 v163, 3, v4
	ds_load_2addr_b64 v[4:7], v153 offset0:56 offset1:191
	v_and_b32_e32 v2, 0xffff, v37
	v_and_b32_e32 v27, 0xff, v9
	s_wait_loadcnt_dscnt 0x400
	v_mul_f32_e32 v73, v6, v53
	s_wait_loadcnt 0x1
	v_mul_f32_e32 v113, v5, v59
	v_mul_u32_u24_e32 v2, 45, v2
	s_delay_alu instid0(VALU_DEP_3) | instskip(NEXT) | instid1(VALU_DEP_2)
	v_fmac_f32_e32 v73, v7, v52
	v_add_lshl_u32 v161, v2, v69, 3
	v_lshlrev_b16 v2, 5, v28
	s_delay_alu instid0(VALU_DEP_1)
	v_dual_mul_f32 v69, v7, v53 :: v_dual_and_b32 v12, 0xffff, v2
	ds_load_2addr_b64 v[0:3], v156 offset0:42 offset1:177
	v_add_co_u32 v38, s12, s10, v12
	ds_load_2addr_b64 v[12:15], v158 offset0:28 offset1:163
	s_wait_alu 0xf1ff
	v_add_co_ci_u32_e64 v39, null, s11, 0, s12
	s_wait_dscnt 0x1
	v_dual_mul_f32 v75, v2, v51 :: v_dual_lshlrev_b32 v162, 3, v8
	ds_load_2addr_b64 v[8:11], v155 offset0:84 offset1:219
	ds_load_2addr_b64 v[16:19], v157 offset0:70 offset1:205
	;; [unrolled: 1-line block ×3, first 2 shown]
	ds_load_2addr_b64 v[34:37], v151 offset1:135
	ds_load_b64 v[40:41], v151 offset:15120
	v_mul_f32_e32 v43, v1, v47
	v_fmac_f32_e32 v75, v3, v50
	s_wait_dscnt 0x5
	v_mul_f32_e32 v85, v14, v57
	v_mul_f32_e32 v81, v13, v49
	;; [unrolled: 1-line block ×3, first 2 shown]
	v_fma_f32 v43, v0, v46, -v43
	v_mul_f32_e32 v83, v15, v57
	v_fmac_f32_e32 v85, v15, v56
	global_wb scope:SCOPE_SE
	s_wait_loadcnt_dscnt 0x0
	s_barrier_signal -1
	s_barrier_wait -1
	global_inv scope:SCOPE_SE
	v_dual_mul_f32 v87, v16, v61 :: v_dual_mul_f32 v74, v3, v51
	v_dual_mul_f32 v117, v23, v45 :: v_dual_mul_f32 v76, v9, v55
	v_mul_f32_e32 v77, v8, v55
	s_delay_alu instid0(VALU_DEP_3) | instskip(NEXT) | instid1(VALU_DEP_4)
	v_fmac_f32_e32 v87, v17, v60
	v_fma_f32 v74, v2, v50, -v74
	s_delay_alu instid0(VALU_DEP_4)
	v_fma_f32 v2, v22, v44, -v117
	v_mul_f32_e32 v118, v22, v45
	v_dual_fmac_f32 v77, v9, v54 :: v_dual_lshlrev_b32 v42, 5, v27
	v_mul_f32_e32 v79, v10, v63
	v_mul_f32_e32 v68, v0, v47
	v_dual_mul_f32 v86, v17, v61 :: v_dual_sub_f32 v3, v2, v43
	v_mul_f32_e32 v164, v40, v67
	v_fma_f32 v76, v8, v54, -v76
	v_fma_f32 v8, v6, v52, -v69
	v_dual_mul_f32 v116, v18, v65 :: v_dual_sub_f32 v15, v43, v2
	v_fmac_f32_e32 v118, v23, v44
	v_mul_f32_e32 v78, v11, v63
	v_mul_f32_e32 v115, v19, v65
	;; [unrolled: 1-line block ×3, first 2 shown]
	v_fmac_f32_e32 v79, v11, v62
	v_fmac_f32_e32 v68, v1, v46
	v_fma_f32 v0, v12, v48, -v81
	v_fma_f32 v1, v14, v56, -v83
	;; [unrolled: 1-line block ×3, first 2 shown]
	v_add_f32_e32 v11, v34, v2
	v_dual_fmac_f32 v164, v41, v66 :: v_dual_sub_f32 v41, v118, v77
	v_sub_f32_e32 v83, v43, v8
	v_dual_fmac_f32 v116, v19, v64 :: v_dual_sub_f32 v81, v68, v73
	v_dual_sub_f32 v19, v73, v77 :: v_dual_mul_f32 v114, v4, v59
	v_sub_f32_e32 v9, v118, v68
	v_dual_fmac_f32 v82, v13, v48 :: v_dual_add_f32 v7, v68, v73
	v_fma_f32 v4, v4, v58, -v113
	s_delay_alu instid0(VALU_DEP_4)
	v_dual_fmac_f32 v114, v5, v58 :: v_dual_sub_f32 v69, v2, v76
	v_sub_f32_e32 v5, v76, v8
	v_fma_f32 v78, v10, v62, -v78
	v_fma_f32 v13, v18, v64, -v115
	;; [unrolled: 1-line block ×3, first 2 shown]
	v_dual_add_f32 v6, v43, v8 :: v_dual_sub_f32 v17, v68, v118
	v_dual_sub_f32 v10, v77, v73 :: v_dual_sub_f32 v113, v0, v74
	v_dual_add_f32 v14, v35, v118 :: v_dual_sub_f32 v117, v74, v0
	v_dual_add_f32 v2, v2, v76 :: v_dual_sub_f32 v119, v12, v78
	v_dual_add_f32 v18, v118, v77 :: v_dual_add_f32 v165, v0, v78
	v_dual_sub_f32 v16, v8, v76 :: v_dual_add_f32 v23, v37, v82
	v_dual_add_f32 v22, v36, v0 :: v_dual_add_f32 v173, v75, v87
	v_dual_add_f32 v86, v74, v12 :: v_dual_sub_f32 v167, v0, v78
	v_dual_sub_f32 v172, v75, v87 :: v_dual_add_f32 v179, v20, v1
	v_dual_sub_f32 v177, v79, v87 :: v_dual_add_f32 v180, v21, v85
	v_sub_f32_e32 v115, v78, v12
	v_dual_sub_f32 v118, v74, v12 :: v_dual_sub_f32 v175, v75, v82
	v_dual_sub_f32 v174, v82, v75 :: v_dual_add_f32 v181, v4, v13
	v_dual_sub_f32 v176, v82, v79 :: v_dual_sub_f32 v183, v4, v1
	v_dual_add_f32 v82, v82, v79 :: v_dual_sub_f32 v185, v40, v13
	v_dual_sub_f32 v178, v87, v79 :: v_dual_add_f32 v187, v1, v40
	v_dual_add_f32 v190, v114, v116 :: v_dual_sub_f32 v191, v85, v114
	v_dual_sub_f32 v192, v114, v85 :: v_dual_sub_f32 v193, v85, v164
	v_dual_add_f32 v85, v85, v164 :: v_dual_add_f32 v196, v3, v5
	v_sub_f32_e32 v182, v1, v4
	v_sub_f32_e32 v188, v1, v40
	v_dual_sub_f32 v194, v164, v116 :: v_dual_add_f32 v197, v9, v10
	v_fma_f32 v0, -0.5, v6, v34
	v_fma_f32 v1, -0.5, v7, v35
	v_dual_add_f32 v9, v11, v43 :: v_dual_add_f32 v10, v14, v68
	v_fma_f32 v2, -0.5, v2, v34
	v_fma_f32 v3, -0.5, v18, v35
	v_dual_sub_f32 v184, v4, v13 :: v_dual_sub_f32 v189, v114, v116
	v_sub_f32_e32 v186, v13, v40
	v_dual_sub_f32 v195, v116, v164 :: v_dual_add_f32 v68, v17, v19
	v_dual_add_f32 v43, v15, v16 :: v_dual_add_f32 v14, v22, v74
	v_add_f32_e32 v15, v23, v75
	v_add_f32_e32 v16, v179, v4
	v_fma_f32 v4, -0.5, v86, v36
	v_fma_f32 v36, -0.5, v165, v36
	v_add_f32_e32 v17, v180, v114
	v_fma_f32 v5, -0.5, v173, v37
	v_fmac_f32_e32 v37, -0.5, v82
	v_add_f32_e32 v82, v175, v178
	v_fma_f32 v6, -0.5, v181, v20
	v_fma_f32 v20, -0.5, v187, v20
	;; [unrolled: 1-line block ×3, first 2 shown]
	v_fmac_f32_e32 v21, -0.5, v85
	v_add_f32_e32 v75, v117, v119
	v_dual_add_f32 v22, v9, v8 :: v_dual_add_f32 v23, v10, v73
	v_dual_fmamk_f32 v8, v41, 0x3f737871, v0 :: v_dual_fmamk_f32 v11, v83, 0x3f737871, v3
	v_dual_fmamk_f32 v9, v69, 0xbf737871, v1 :: v_dual_fmac_f32 v0, 0xbf737871, v41
	v_dual_fmamk_f32 v10, v81, 0xbf737871, v2 :: v_dual_fmac_f32 v3, 0xbf737871, v83
	v_dual_fmac_f32 v2, 0x3f737871, v81 :: v_dual_add_f32 v35, v15, v87
	v_dual_fmac_f32 v1, 0x3f737871, v69 :: v_dual_add_f32 v34, v14, v12
	v_add_f32_e32 v73, v16, v13
	v_dual_add_f32 v87, v17, v116 :: v_dual_fmamk_f32 v12, v176, 0x3f737871, v4
	v_dual_fmamk_f32 v14, v172, 0xbf737871, v36 :: v_dual_fmamk_f32 v13, v167, 0xbf737871, v5
	v_dual_fmac_f32 v36, 0x3f737871, v172 :: v_dual_fmac_f32 v5, 0x3f737871, v167
	v_dual_fmamk_f32 v15, v118, 0x3f737871, v37 :: v_dual_fmamk_f32 v16, v193, 0x3f737871, v6
	v_dual_fmac_f32 v37, 0xbf737871, v118 :: v_dual_fmac_f32 v6, 0xbf737871, v193
	;; [unrolled: 2-line block ×3, first 2 shown]
	v_dual_fmamk_f32 v19, v184, 0x3f737871, v21 :: v_dual_add_f32 v22, v22, v76
	v_dual_fmac_f32 v21, 0xbf737871, v184 :: v_dual_add_f32 v34, v34, v78
	v_fmac_f32_e32 v4, 0xbf737871, v176
	v_dual_fmac_f32 v8, 0x3f167918, v81 :: v_dual_fmac_f32 v1, 0x3f167918, v83
	v_dual_fmac_f32 v9, 0xbf167918, v83 :: v_dual_fmac_f32 v2, 0xbf167918, v41
	v_dual_fmac_f32 v10, 0x3f167918, v41 :: v_dual_add_f32 v35, v35, v79
	s_delay_alu instid0(VALU_DEP_4)
	v_dual_fmac_f32 v11, 0xbf167918, v69 :: v_dual_fmac_f32 v4, 0xbf167918, v172
	v_dual_fmac_f32 v3, 0x3f167918, v69 :: v_dual_fmac_f32 v12, 0x3f167918, v172
	v_dual_fmac_f32 v0, 0xbf167918, v81 :: v_dual_add_f32 v41, v87, v164
	v_dual_add_f32 v74, v113, v115 :: v_dual_add_f32 v113, v182, v185
	v_dual_add_f32 v86, v174, v177 :: v_dual_add_f32 v115, v191, v194
	v_dual_fmac_f32 v14, 0x3f167918, v176 :: v_dual_fmac_f32 v5, 0x3f167918, v118
	v_dual_fmac_f32 v36, 0xbf167918, v176 :: v_dual_fmac_f32 v13, 0xbf167918, v118
	v_dual_add_f32 v114, v183, v186 :: v_dual_add_f32 v85, v192, v195
	v_dual_fmac_f32 v15, 0xbf167918, v167 :: v_dual_fmac_f32 v6, 0xbf167918, v189
	v_dual_fmac_f32 v37, 0x3f167918, v167 :: v_dual_fmac_f32 v16, 0x3f167918, v189
	v_dual_fmac_f32 v20, 0xbf167918, v193 :: v_dual_fmac_f32 v17, 0xbf167918, v184
	v_fmac_f32_e32 v21, 0x3f167918, v188
	v_dual_add_f32 v23, v23, v77 :: v_dual_add_f32 v40, v73, v40
	v_dual_fmac_f32 v18, 0x3f167918, v193 :: v_dual_fmac_f32 v7, 0x3f167918, v184
	v_fmac_f32_e32 v19, 0xbf167918, v188
	v_dual_fmac_f32 v8, 0x3e9e377a, v196 :: v_dual_fmac_f32 v9, 0x3e9e377a, v197
	v_dual_fmac_f32 v10, 0x3e9e377a, v43 :: v_dual_fmac_f32 v11, 0x3e9e377a, v68
	;; [unrolled: 1-line block ×12, first 2 shown]
	ds_store_2addr_b64 v161, v[22:23], v[8:9] offset1:9
	ds_store_2addr_b64 v161, v[10:11], v[2:3] offset0:18 offset1:27
	ds_store_b64 v161, v[0:1] offset:288
	ds_store_2addr_b64 v163, v[34:35], v[12:13] offset1:9
	ds_store_2addr_b64 v163, v[14:15], v[36:37] offset0:18 offset1:27
	ds_store_b64 v163, v[4:5] offset:288
	;; [unrolled: 3-line block ×3, first 2 shown]
	global_wb scope:SCOPE_SE
	s_wait_dscnt 0x0
	s_barrier_signal -1
	s_barrier_wait -1
	global_inv scope:SCOPE_SE
	s_clause 0x3
	global_load_b128 v[20:23], v42, s[10:11] offset:336
	global_load_b128 v[12:15], v[38:39], off offset:336
	global_load_b128 v[8:11], v42, s[10:11] offset:352
	global_load_b128 v[0:3], v[38:39], off offset:352
	v_and_b32_e32 v4, 0xffff, v30
	v_lshrrev_b32_e32 v73, 23, v32
	s_delay_alu instid0(VALU_DEP_2)
	v_add_co_u32 v4, s12, s10, v4
	s_wait_alu 0xf1ff
	v_add_co_ci_u32_e64 v5, null, s11, 0, s12
	s_clause 0x1
	global_load_b128 v[16:19], v[4:5], off offset:336
	global_load_b128 v[4:7], v[4:5], off offset:352
	v_add_co_u32 v30, s12, 0xffffffa6, v152
	s_wait_alu 0xf1ff
	v_add_co_ci_u32_e64 v34, null, 0, -1, s12
	v_mul_lo_u16 v32, 0xe1, v73
	s_delay_alu instid0(VALU_DEP_3) | instskip(SKIP_1) | instid1(VALU_DEP_4)
	v_cndmask_b32_e32 v68, v30, v71, vcc_lo
	v_lshrrev_b32_e32 v30, 23, v31
	v_cndmask_b32_e32 v69, v34, v33, vcc_lo
	s_delay_alu instid0(VALU_DEP_4) | instskip(NEXT) | instid1(VALU_DEP_3)
	v_sub_nc_u16 v74, v80, v32
	v_mul_lo_u16 v33, 0xe1, v30
	s_delay_alu instid0(VALU_DEP_3) | instskip(NEXT) | instid1(VALU_DEP_3)
	v_lshlrev_b64_e32 v[30:31], 4, v[68:69]
	v_lshlrev_b16 v32, 4, v74
	s_delay_alu instid0(VALU_DEP_3) | instskip(SKIP_1) | instid1(VALU_DEP_4)
	v_sub_nc_u16 v75, v84, v33
	v_lshlrev_b32_e32 v84, 4, v84
	v_add_co_u32 v81, vcc_lo, s10, v30
	s_wait_alu 0xfffd
	v_add_co_ci_u32_e32 v82, vcc_lo, s11, v31, vcc_lo
	ds_load_2addr_b64 v[28:31], v156 offset0:42 offset1:177
	v_and_b32_e32 v83, 0xffff, v32
	ds_load_2addr_b64 v[32:35], v155 offset0:84 offset1:219
	v_and_b32_e32 v26, 0xffff, v26
	v_lshlrev_b16 v36, 4, v75
	v_and_b32_e32 v24, 0xffff, v24
	v_and_b32_e32 v25, 0xffff, v25
	v_lshlrev_b32_e32 v69, 4, v152
	v_cmp_lt_u16_e32 vcc_lo, 0x59, v70
	v_and_b32_e32 v87, 0xffff, v36
	ds_load_2addr_b64 v[36:39], v154 offset0:14 offset1:149
	ds_load_2addr_b64 v[40:43], v153 offset0:56 offset1:191
	s_wait_alu 0xfffd
	v_cndmask_b32_e64 v70, 0, 0x2a3, vcc_lo
	s_wait_loadcnt_dscnt 0x300
	v_dual_mul_f32 v117, v29, v23 :: v_dual_mul_f32 v178, v43, v9
	v_mul_u32_u24_e32 v26, 0xe1, v26
	v_dual_mul_f32 v119, v31, v15 :: v_dual_lshlrev_b32 v164, 3, v24
	v_mul_f32_e32 v173, v33, v11
	v_dual_mul_f32 v174, v32, v11 :: v_dual_lshlrev_b32 v165, 3, v25
	s_delay_alu instid0(VALU_DEP_4)
	v_add_lshl_u32 v167, v26, v27, 3
	ds_load_2addr_b64 v[24:27], v157 offset0:70 offset1:205
	ds_load_2addr_b64 v[76:79], v158 offset0:28 offset1:163
	ds_load_2addr_b64 v[113:116], v151 offset1:135
	ds_load_b64 v[85:86], v151 offset:15120
	v_mul_f32_e32 v118, v28, v23
	v_mul_f32_e32 v172, v30, v15
	s_wait_loadcnt 0x2
	v_dual_mul_f32 v175, v35, v3 :: v_dual_mul_f32 v180, v38, v21
	s_wait_loadcnt 0x1
	v_mul_f32_e32 v187, v41, v19
	v_mul_f32_e32 v177, v39, v21
	v_dual_mul_f32 v179, v42, v9 :: v_dual_fmac_f32 v118, v29, v22
	v_mul_f32_e32 v176, v34, v3
	v_fmac_f32_e32 v172, v31, v14
	v_mul_f32_e32 v188, v40, v19
	v_fma_f32 v28, v28, v22, -v117
	v_fma_f32 v117, v32, v10, -v173
	v_fmac_f32_e32 v174, v33, v10
	v_fma_f32 v33, v42, v8, -v178
	v_fmac_f32_e32 v179, v43, v8
	s_wait_dscnt 0x3
	v_mul_f32_e32 v181, v25, v1
	s_wait_dscnt 0x2
	v_mul_f32_e32 v184, v76, v13
	v_mul_f32_e32 v185, v79, v17
	s_wait_loadcnt_dscnt 0x0
	v_dual_mul_f32 v182, v77, v13 :: v_dual_mul_f32 v191, v86, v7
	v_mul_f32_e32 v183, v24, v1
	v_mul_f32_e32 v186, v78, v17
	v_fmac_f32_e32 v184, v77, v12
	v_fma_f32 v31, v78, v16, -v185
	v_dual_mul_f32 v189, v27, v5 :: v_dual_fmac_f32 v188, v41, v18
	v_dual_mul_f32 v190, v26, v5 :: v_dual_fmac_f32 v183, v25, v0
	v_mul_f32_e32 v192, v85, v7
	v_fma_f32 v32, v38, v20, -v177
	v_dual_fmac_f32 v180, v39, v20 :: v_dual_sub_f32 v41, v174, v179
	v_fma_f32 v29, v30, v14, -v119
	v_fma_f32 v119, v34, v2, -v175
	s_delay_alu instid0(VALU_DEP_4)
	v_dual_fmac_f32 v176, v35, v2 :: v_dual_sub_f32 v25, v32, v28
	v_fma_f32 v30, v76, v12, -v182
	v_fmac_f32_e32 v186, v79, v16
	v_fma_f32 v34, v24, v0, -v181
	v_fma_f32 v24, v40, v18, -v187
	v_add_f32_e32 v201, v36, v31
	v_fma_f32 v35, v26, v4, -v189
	v_dual_fmac_f32 v190, v27, v4 :: v_dual_sub_f32 v39, v180, v118
	v_fma_f32 v173, v85, v6, -v191
	v_dual_fmac_f32 v192, v86, v6 :: v_dual_sub_f32 v177, v32, v117
	v_dual_sub_f32 v26, v117, v33 :: v_dual_sub_f32 v175, v180, v174
	v_dual_add_f32 v38, v118, v179 :: v_dual_sub_f32 v181, v28, v33
	v_dual_add_f32 v42, v114, v180 :: v_dual_add_f32 v85, v115, v30
	v_dual_add_f32 v27, v28, v33 :: v_dual_add_f32 v40, v113, v32
	v_dual_sub_f32 v79, v179, v174 :: v_dual_sub_f32 v178, v118, v179
	v_sub_f32_e32 v43, v28, v32
	v_dual_add_f32 v32, v32, v117 :: v_dual_sub_f32 v185, v29, v34
	v_dual_add_f32 v86, v116, v184 :: v_dual_add_f32 v189, v30, v119
	v_dual_sub_f32 v197, v184, v172 :: v_dual_add_f32 v202, v37, v186
	v_sub_f32_e32 v206, v31, v24
	v_dual_sub_f32 v200, v176, v183 :: v_dual_add_f32 v201, v201, v24
	v_dual_add_f32 v78, v180, v174 :: v_dual_sub_f32 v187, v30, v29
	v_dual_sub_f32 v76, v33, v117 :: v_dual_sub_f32 v77, v118, v180
	v_dual_add_f32 v180, v29, v34 :: v_dual_sub_f32 v191, v30, v119
	v_dual_add_f32 v194, v172, v183 :: v_dual_sub_f32 v199, v183, v176
	v_add_f32_e32 v198, v184, v176
	v_dual_sub_f32 v182, v29, v30 :: v_dual_sub_f32 v195, v172, v184
	v_dual_sub_f32 v30, v34, v119 :: v_dual_sub_f32 v193, v119, v34
	v_dual_sub_f32 v196, v172, v183 :: v_dual_add_f32 v207, v31, v173
	v_dual_add_f32 v203, v24, v35 :: v_dual_sub_f32 v208, v31, v173
	v_dual_sub_f32 v204, v24, v31 :: v_dual_add_f32 v211, v25, v26
	v_dual_sub_f32 v205, v24, v35 :: v_dual_add_f32 v42, v42, v118
	v_dual_sub_f32 v31, v35, v173 :: v_dual_sub_f32 v118, v173, v35
	v_add_f32_e32 v209, v188, v190
	v_fma_f32 v25, -0.5, v38, v114
	v_add_f32_e32 v38, v186, v192
	v_dual_sub_f32 v184, v184, v176 :: v_dual_add_f32 v85, v85, v29
	v_add_f32_e32 v86, v86, v172
	v_sub_f32_e32 v172, v188, v186
	v_dual_sub_f32 v210, v188, v190 :: v_dual_add_f32 v213, v43, v76
	v_fma_f32 v24, -0.5, v27, v113
	v_fma_f32 v26, -0.5, v32, v113
	v_dual_sub_f32 v32, v192, v190 :: v_dual_add_f32 v113, v201, v35
	v_add_f32_e32 v202, v202, v188
	v_dual_sub_f32 v188, v186, v188 :: v_dual_add_f32 v85, v85, v34
	v_dual_add_f32 v40, v40, v28 :: v_dual_add_f32 v187, v187, v193
	v_fma_f32 v27, -0.5, v78, v114
	v_dual_add_f32 v212, v39, v41 :: v_dual_sub_f32 v39, v190, v192
	v_fma_f32 v28, -0.5, v180, v115
	v_fma_f32 v115, -0.5, v189, v115
	v_add_f32_e32 v189, v197, v200
	v_fma_f32 v29, -0.5, v194, v116
	v_fmac_f32_e32 v116, -0.5, v198
	v_dual_add_f32 v180, v182, v30 :: v_dual_fmamk_f32 v35, v177, 0xbf737871, v25
	v_fma_f32 v30, -0.5, v203, v36
	v_fma_f32 v36, -0.5, v207, v36
	v_add_f32_e32 v193, v204, v31
	v_fma_f32 v31, -0.5, v209, v37
	v_dual_fmac_f32 v37, -0.5, v38 :: v_dual_sub_f32 v186, v186, v192
	v_add_f32_e32 v214, v77, v79
	v_dual_add_f32 v79, v42, v179 :: v_dual_add_f32 v188, v188, v32
	v_fmamk_f32 v32, v178, 0xbf737871, v26
	v_fmac_f32_e32 v26, 0x3f737871, v178
	v_dual_fmamk_f32 v34, v175, 0x3f737871, v24 :: v_dual_add_f32 v85, v85, v119
	v_dual_add_f32 v78, v40, v33 :: v_dual_fmamk_f32 v43, v205, 0x3f737871, v37
	v_dual_add_f32 v86, v86, v183 :: v_dual_fmac_f32 v37, 0xbf737871, v205
	v_dual_add_f32 v114, v202, v190 :: v_dual_fmamk_f32 v77, v208, 0xbf737871, v31
	v_fmamk_f32 v33, v181, 0x3f737871, v27
	v_dual_fmac_f32 v27, 0xbf737871, v181 :: v_dual_fmac_f32 v24, 0xbf737871, v175
	v_add_f32_e32 v113, v113, v173
	v_dual_fmac_f32 v25, 0x3f737871, v177 :: v_dual_add_f32 v182, v195, v199
	v_dual_add_f32 v172, v172, v39 :: v_dual_fmamk_f32 v39, v185, 0x3f737871, v116
	v_fmamk_f32 v38, v196, 0xbf737871, v115
	v_fmac_f32_e32 v115, 0x3f737871, v196
	v_fmac_f32_e32 v116, 0xbf737871, v185
	v_dual_add_f32 v118, v206, v118 :: v_dual_fmamk_f32 v41, v191, 0xbf737871, v29
	v_fmamk_f32 v40, v184, 0x3f737871, v28
	v_fmac_f32_e32 v28, 0xbf737871, v184
	v_fmamk_f32 v42, v210, 0xbf737871, v36
	v_dual_fmac_f32 v36, 0x3f737871, v210 :: v_dual_fmac_f32 v29, 0x3f737871, v191
	v_fmamk_f32 v76, v186, 0x3f737871, v30
	v_fmac_f32_e32 v30, 0xbf737871, v186
	v_fmac_f32_e32 v31, 0x3f737871, v208
	v_dual_fmac_f32 v26, 0xbf167918, v175 :: v_dual_fmac_f32 v35, 0xbf167918, v181
	v_dual_fmac_f32 v34, 0x3f167918, v178 :: v_dual_fmac_f32 v29, 0x3f167918, v185
	v_dual_add_f32 v79, v79, v174 :: v_dual_add_f32 v86, v86, v176
	v_dual_fmac_f32 v33, 0xbf167918, v177 :: v_dual_add_f32 v114, v114, v192
	v_dual_fmac_f32 v27, 0x3f167918, v177 :: v_dual_fmac_f32 v32, 0x3f167918, v175
	v_fmac_f32_e32 v25, 0x3f167918, v181
	v_dual_fmac_f32 v24, 0xbf167918, v178 :: v_dual_fmac_f32 v39, 0xbf167918, v191
	v_dual_add_f32 v78, v78, v117 :: v_dual_fmac_f32 v115, 0xbf167918, v184
	v_dual_fmac_f32 v38, 0x3f167918, v184 :: v_dual_fmac_f32 v31, 0x3f167918, v205
	v_dual_fmac_f32 v116, 0x3f167918, v191 :: v_dual_fmac_f32 v37, 0x3f167918, v208
	v_fmac_f32_e32 v40, 0x3f167918, v196
	v_dual_fmac_f32 v28, 0xbf167918, v196 :: v_dual_fmac_f32 v41, 0xbf167918, v185
	v_dual_fmac_f32 v36, 0xbf167918, v186 :: v_dual_fmac_f32 v43, 0xbf167918, v208
	v_fmac_f32_e32 v42, 0x3f167918, v186
	v_fmac_f32_e32 v76, 0x3f167918, v210
	v_dual_fmac_f32 v30, 0xbf167918, v210 :: v_dual_fmac_f32 v77, 0xbf167918, v205
	v_dual_fmac_f32 v34, 0x3e9e377a, v211 :: v_dual_fmac_f32 v35, 0x3e9e377a, v212
	;; [unrolled: 1-line block ×9, first 2 shown]
	global_wb scope:SCOPE_SE
	s_barrier_signal -1
	s_barrier_wait -1
	global_inv scope:SCOPE_SE
	v_dual_fmac_f32 v28, 0x3e9e377a, v187 :: v_dual_fmac_f32 v29, 0x3e9e377a, v189
	v_dual_fmac_f32 v42, 0x3e9e377a, v193 :: v_dual_fmac_f32 v43, 0x3e9e377a, v172
	;; [unrolled: 1-line block ×4, first 2 shown]
	ds_store_2addr_b64 v167, v[78:79], v[34:35] offset1:45
	ds_store_2addr_b64 v167, v[32:33], v[26:27] offset0:90 offset1:135
	ds_store_b64 v167, v[24:25] offset:1440
	ds_store_2addr_b64 v164, v[38:39], v[115:116] offset0:90 offset1:135
	ds_store_2addr_b64 v164, v[85:86], v[40:41] offset1:45
	ds_store_b64 v164, v[28:29] offset:1440
	ds_store_2addr_b64 v165, v[42:43], v[36:37] offset0:90 offset1:135
	ds_store_2addr_b64 v165, v[113:114], v[76:77] offset1:45
	ds_store_b64 v165, v[30:31] offset:1440
	global_wb scope:SCOPE_SE
	s_wait_dscnt 0x0
	s_barrier_signal -1
	s_barrier_wait -1
	global_inv scope:SCOPE_SE
	s_clause 0x1
	global_load_b128 v[36:39], v69, s[10:11] offset:1776
	global_load_b128 v[32:35], v[81:82], off offset:1776
	v_add_co_u32 v28, s12, s10, v83
	s_wait_alu 0xf1ff
	v_add_co_ci_u32_e64 v29, null, s11, 0, s12
	v_add_co_u32 v40, s12, s10, v87
	s_wait_alu 0xf1ff
	v_add_co_ci_u32_e64 v41, null, s11, 0, s12
	s_clause 0x2
	global_load_b128 v[24:27], v69, s[10:11] offset:2496
	global_load_b128 v[28:31], v[28:29], off offset:1776
	global_load_b128 v[40:43], v[40:41], off offset:1776
	v_mad_u16 v77, 0x2a3, v73, v74
	v_and_b32_e32 v78, 0xffff, v75
	ds_load_2addr_b64 v[73:76], v157 offset0:70 offset1:205
	ds_load_2addr_b64 v[113:116], v156 offset0:42 offset1:177
	;; [unrolled: 1-line block ×3, first 2 shown]
	v_lshlrev_b32_e32 v79, 4, v71
	v_add_lshl_u32 v176, v68, v70, 3
	ds_load_2addr_b64 v[181:184], v153 offset0:56 offset1:191
	ds_load_2addr_b64 v[185:188], v158 offset0:28 offset1:163
	ds_load_2addr_b64 v[189:192], v151 offset1:135
	ds_load_b64 v[70:71], v151 offset:15120
	ds_load_2addr_b64 v[193:196], v154 offset0:14 offset1:149
	v_and_b32_e32 v77, 0xffff, v77
	v_add_nc_u32_e32 v173, 0x1600, v151
	global_wb scope:SCOPE_SE
	s_wait_loadcnt_dscnt 0x0
	s_barrier_signal -1
	s_barrier_wait -1
	global_inv scope:SCOPE_SE
	v_mul_f32_e32 v68, v74, v39
	v_dual_mul_f32 v82, v114, v33 :: v_dual_mul_f32 v81, v75, v35
	v_dual_mul_f32 v77, v73, v39 :: v_dual_lshlrev_b32 v174, 3, v77
	v_mul_f32_e32 v83, v113, v33
	v_mul_f32_e32 v201, v188, v37
	s_delay_alu instid0(VALU_DEP_4)
	v_fmac_f32_e32 v81, v76, v34
	v_fma_f32 v68, v73, v38, -v68
	v_fmac_f32_e32 v77, v74, v38
	v_lshlrev_b32_e32 v172, 3, v78
	v_mul_f32_e32 v78, v76, v35
	v_dual_mul_f32 v203, v70, v43 :: v_dual_mul_f32 v86, v115, v25
	v_fmac_f32_e32 v83, v114, v32
	s_delay_alu instid0(VALU_DEP_4) | instskip(SKIP_4) | instid1(VALU_DEP_3)
	v_add_nc_u32_e32 v175, 0x2a00, v172
	v_mul_f32_e32 v87, v178, v27
	v_dual_mul_f32 v117, v177, v27 :: v_dual_mul_f32 v202, v187, v37
	v_mul_f32_e32 v85, v116, v25
	v_dual_mul_f32 v118, v180, v31 :: v_dual_mul_f32 v197, v182, v29
	v_fmac_f32_e32 v117, v178, v26
	v_mul_f32_e32 v199, v184, v41
	v_dual_mul_f32 v119, v179, v31 :: v_dual_mul_f32 v198, v181, v29
	v_fma_f32 v75, v75, v34, -v78
	v_fma_f32 v73, v113, v32, -v82
	v_dual_fmac_f32 v86, v116, v24 :: v_dual_fmac_f32 v203, v71, v42
	v_mul_f32_e32 v204, v71, v43
	v_fma_f32 v82, v177, v26, -v87
	v_fma_f32 v87, v187, v36, -v201
	v_dual_mul_f32 v200, v183, v41 :: v_dual_add_f32 v177, v192, v83
	v_fmac_f32_e32 v202, v188, v36
	v_fma_f32 v74, v115, v24, -v85
	v_fma_f32 v85, v179, v30, -v118
	v_add_f32_e32 v179, v191, v73
	v_fma_f32 v76, v181, v28, -v197
	v_fma_f32 v78, v183, v40, -v199
	v_dual_fmac_f32 v119, v180, v30 :: v_dual_fmac_f32 v198, v182, v28
	s_delay_alu instid0(VALU_DEP_3)
	v_dual_add_f32 v114, v202, v77 :: v_dual_add_f32 v201, v195, v76
	v_dual_add_f32 v115, v189, v87 :: v_dual_fmac_f32 v200, v184, v40
	v_dual_sub_f32 v181, v73, v75 :: v_dual_add_f32 v116, v87, v68
	v_add_f32_e32 v187, v74, v82
	v_sub_f32_e32 v183, v86, v117
	v_fma_f32 v113, v70, v42, -v204
	v_add_f32_e32 v180, v73, v75
	v_dual_add_f32 v70, v190, v202 :: v_dual_sub_f32 v87, v87, v68
	v_sub_f32_e32 v178, v83, v81
	v_add_f32_e32 v83, v83, v81
	v_sub_f32_e32 v199, v198, v119
	v_dual_sub_f32 v118, v202, v77 :: v_dual_add_f32 v197, v196, v198
	v_dual_add_f32 v182, v194, v86 :: v_dual_sub_f32 v207, v200, v203
	v_dual_add_f32 v184, v86, v117 :: v_dual_add_f32 v205, v185, v78
	v_dual_add_f32 v86, v193, v74 :: v_dual_add_f32 v71, v70, v77
	v_add_f32_e32 v202, v76, v85
	v_dual_sub_f32 v188, v74, v82 :: v_dual_add_f32 v75, v179, v75
	v_add_f32_e32 v198, v198, v119
	v_add_f32_e32 v204, v186, v200
	v_sub_f32_e32 v209, v78, v113
	v_fma_f32 v73, -0.5, v116, v189
	v_add_f32_e32 v200, v200, v203
	v_fma_f32 v74, -0.5, v114, v190
	v_fma_f32 v191, -0.5, v180, v191
	v_add_f32_e32 v208, v78, v113
	v_add_f32_e32 v77, v86, v82
	v_fma_f32 v195, -0.5, v202, v195
	v_fmac_f32_e32 v192, -0.5, v83
	v_sub_f32_e32 v206, v76, v85
	v_add_f32_e32 v76, v177, v81
	v_add_f32_e32 v81, v201, v85
	;; [unrolled: 1-line block ×3, first 2 shown]
	v_fma_f32 v113, -0.5, v187, v193
	v_fma_f32 v114, -0.5, v184, v194
	v_add_f32_e32 v70, v115, v68
	v_add_f32_e32 v78, v182, v117
	v_dual_fmac_f32 v196, -0.5, v198 :: v_dual_fmamk_f32 v115, v118, 0x3f5db3d7, v73
	v_dual_fmamk_f32 v116, v87, 0xbf5db3d7, v74 :: v_dual_fmac_f32 v73, 0xbf5db3d7, v118
	v_fmamk_f32 v117, v178, 0x3f5db3d7, v191
	v_fmac_f32_e32 v191, 0xbf5db3d7, v178
	v_fma_f32 v185, -0.5, v208, v185
	v_fmac_f32_e32 v186, -0.5, v200
	v_dual_fmac_f32 v74, 0x3f5db3d7, v87 :: v_dual_fmamk_f32 v179, v199, 0x3f5db3d7, v195
	v_fmamk_f32 v118, v181, 0xbf5db3d7, v192
	v_dual_fmac_f32 v192, 0x3f5db3d7, v181 :: v_dual_fmamk_f32 v177, v183, 0x3f5db3d7, v113
	v_fmamk_f32 v178, v188, 0xbf5db3d7, v114
	v_dual_add_f32 v82, v197, v119 :: v_dual_fmamk_f32 v181, v207, 0x3f5db3d7, v185
	v_add_f32_e32 v86, v204, v203
	v_fmac_f32_e32 v113, 0xbf5db3d7, v183
	v_fmac_f32_e32 v114, 0x3f5db3d7, v188
	v_dual_fmac_f32 v195, 0xbf5db3d7, v199 :: v_dual_fmamk_f32 v180, v206, 0xbf5db3d7, v196
	v_fmac_f32_e32 v196, 0x3f5db3d7, v206
	v_dual_fmac_f32 v185, 0xbf5db3d7, v207 :: v_dual_fmamk_f32 v182, v209, 0xbf5db3d7, v186
	v_fmac_f32_e32 v186, 0x3f5db3d7, v209
	ds_store_2addr_b64 v151, v[70:71], v[115:116] offset1:225
	ds_store_b64 v151, v[73:74] offset:3600
	ds_store_2addr_b64 v176, v[75:76], v[117:118] offset1:225
	ds_store_b64 v176, v[191:192] offset:3600
	ds_store_2addr_b64 v173, v[77:78], v[177:178] offset0:16 offset1:241
	ds_store_b64 v151, v[113:114] offset:9360
	ds_store_2addr_b64 v174, v[81:82], v[179:180] offset1:225
	ds_store_b64 v174, v[195:196] offset:3600
	ds_store_2addr_b64 v175, v[85:86], v[181:182] offset0:6 offset1:231
	ds_store_b64 v172, v[185:186] offset:14400
	v_lshlrev_b32_e32 v76, 4, v72
	global_wb scope:SCOPE_SE
	s_wait_dscnt 0x0
	s_barrier_signal -1
	s_barrier_wait -1
	global_inv scope:SCOPE_SE
	s_clause 0x2
	global_load_b128 v[68:71], v69, s[10:11] offset:5376
	global_load_b128 v[72:75], v79, s[10:11] offset:5376
	;; [unrolled: 1-line block ×3, first 2 shown]
	v_lshlrev_b32_e32 v80, 4, v80
	s_clause 0x1
	global_load_b128 v[84:87], v84, s[10:11] offset:5376
	global_load_b128 v[80:83], v80, s[10:11] offset:5376
	ds_load_2addr_b64 v[113:116], v157 offset0:70 offset1:205
	ds_load_2addr_b64 v[177:180], v156 offset0:42 offset1:177
	;; [unrolled: 1-line block ×4, first 2 shown]
	ds_load_2addr_b64 v[189:192], v151 offset1:135
	ds_load_b64 v[117:118], v151 offset:15120
	ds_load_2addr_b64 v[193:196], v153 offset0:56 offset1:191
	ds_load_2addr_b64 v[197:200], v154 offset0:14 offset1:149
	s_wait_loadcnt_dscnt 0x407
	v_mul_f32_e32 v119, v114, v71
	v_mul_f32_e32 v201, v113, v71
	s_wait_loadcnt 0x3
	v_mul_f32_e32 v203, v115, v75
	s_wait_dscnt 0x6
	v_mul_f32_e32 v205, v177, v73
	s_wait_dscnt 0x5
	v_dual_mul_f32 v209, v183, v69 :: v_dual_mul_f32 v202, v116, v75
	v_mul_f32_e32 v204, v178, v73
	s_wait_loadcnt 0x2
	v_mul_f32_e32 v207, v179, v77
	v_fma_f32 v113, v113, v70, -v119
	v_fmac_f32_e32 v209, v184, v68
	v_fmac_f32_e32 v201, v114, v70
	;; [unrolled: 1-line block ×3, first 2 shown]
	s_wait_dscnt 0x4
	v_mul_f32_e32 v119, v185, v79
	s_wait_loadcnt 0x0
	v_dual_mul_f32 v114, v188, v83 :: v_dual_fmac_f32 v205, v178, v72
	v_mul_f32_e32 v208, v184, v69
	v_mul_f32_e32 v210, v186, v79
	v_fma_f32 v115, v115, v74, -v202
	v_mul_f32_e32 v202, v187, v83
	v_fma_f32 v177, v177, v72, -v204
	v_fmac_f32_e32 v207, v180, v76
	s_wait_dscnt 0x1
	v_dual_fmac_f32 v119, v186, v78 :: v_dual_mul_f32 v204, v193, v81
	v_fma_f32 v186, v187, v82, -v114
	v_mul_f32_e32 v187, v117, v87
	v_fma_f32 v114, v183, v68, -v208
	v_mul_f32_e32 v206, v180, v77
	v_mul_f32_e32 v180, v118, v87
	;; [unrolled: 1-line block ×3, first 2 shown]
	v_fmac_f32_e32 v204, v194, v80
	v_dual_fmac_f32 v187, v118, v86 :: v_dual_add_f32 v118, v191, v177
	v_fmac_f32_e32 v202, v188, v82
	v_fma_f32 v188, v117, v86, -v180
	v_add_f32_e32 v117, v189, v114
	v_fma_f32 v178, v179, v76, -v206
	v_mul_f32_e32 v179, v196, v85
	v_fma_f32 v183, v193, v80, -v116
	v_sub_f32_e32 v193, v209, v201
	v_fma_f32 v185, v185, v78, -v210
	v_mul_f32_e32 v206, v195, v85
	v_fma_f32 v184, v195, v84, -v179
	v_add_f32_e32 v116, v190, v209
	v_add_f32_e32 v179, v209, v201
	;; [unrolled: 1-line block ×3, first 2 shown]
	v_dual_add_f32 v195, v192, v205 :: v_dual_add_f32 v208, v177, v115
	v_sub_f32_e32 v209, v177, v115
	v_add_f32_e32 v115, v118, v115
	v_sub_f32_e32 v194, v114, v113
	v_add_f32_e32 v113, v117, v113
	s_wait_dscnt 0x0
	v_dual_add_f32 v117, v197, v178 :: v_dual_add_f32 v210, v178, v185
	v_add_f32_e32 v118, v198, v207
	v_fmac_f32_e32 v206, v196, v84
	v_sub_f32_e32 v196, v205, v203
	v_dual_add_f32 v205, v205, v203 :: v_dual_add_f32 v114, v116, v201
	v_add_f32_e32 v201, v207, v119
	v_dual_add_f32 v116, v195, v203 :: v_dual_add_f32 v117, v117, v185
	v_sub_f32_e32 v195, v207, v119
	v_sub_f32_e32 v203, v178, v185
	v_add_f32_e32 v185, v204, v202
	v_add_f32_e32 v207, v183, v186
	v_fma_f32 v178, -0.5, v179, v190
	v_fma_f32 v179, -0.5, v210, v197
	v_dual_add_f32 v197, v181, v184 :: v_dual_add_f32 v118, v118, v119
	v_add_f32_e32 v119, v199, v183
	v_fma_f32 v177, -0.5, v180, v189
	v_add_f32_e32 v190, v184, v188
	v_dual_add_f32 v189, v200, v204 :: v_dual_fmac_f32 v192, -0.5, v205
	v_fma_f32 v180, -0.5, v201, v198
	v_sub_f32_e32 v201, v183, v186
	v_sub_f32_e32 v205, v184, v188
	v_fma_f32 v191, -0.5, v208, v191
	v_dual_fmac_f32 v200, -0.5, v185 :: v_dual_add_f32 v185, v206, v187
	v_fma_f32 v199, -0.5, v207, v199
	v_fma_f32 v181, -0.5, v190, v181
	v_add_f32_e32 v190, v182, v206
	v_sub_f32_e32 v198, v204, v202
	v_sub_f32_e32 v204, v206, v187
	v_dual_fmac_f32 v182, -0.5, v185 :: v_dual_add_f32 v183, v119, v186
	v_add_f32_e32 v184, v189, v202
	v_add_f32_e32 v185, v197, v188
	v_fmamk_f32 v189, v196, 0x3f5db3d7, v191
	v_dual_fmac_f32 v191, 0xbf5db3d7, v196 :: v_dual_add_f32 v186, v190, v187
	v_fmamk_f32 v187, v193, 0x3f5db3d7, v177
	v_fmac_f32_e32 v177, 0xbf5db3d7, v193
	v_fmamk_f32 v193, v195, 0x3f5db3d7, v179
	v_fmac_f32_e32 v179, 0xbf5db3d7, v195
	;; [unrolled: 2-line block ×3, first 2 shown]
	v_fmamk_f32 v197, v204, 0x3f5db3d7, v181
	v_dual_fmamk_f32 v188, v194, 0xbf5db3d7, v178 :: v_dual_fmac_f32 v181, 0xbf5db3d7, v204
	v_fmac_f32_e32 v178, 0x3f5db3d7, v194
	v_fmamk_f32 v190, v209, 0xbf5db3d7, v192
	v_fmac_f32_e32 v192, 0x3f5db3d7, v209
	v_fmamk_f32 v194, v203, 0xbf5db3d7, v180
	;; [unrolled: 2-line block ×4, first 2 shown]
	v_fmac_f32_e32 v182, 0x3f5db3d7, v205
	ds_store_b64 v151, v[187:188] offset:5400
	ds_store_b64 v151, v[177:178] offset:10800
	ds_store_2addr_b64 v151, v[113:114], v[115:116] offset1:135
	ds_store_2addr_b64 v160, v[191:192], v[179:180] offset0:77 offset1:212
	ds_store_2addr_b64 v159, v[199:200], v[181:182] offset0:91 offset1:226
	ds_store_2addr_b64 v156, v[189:190], v[193:194] offset0:42 offset1:177
	ds_store_2addr_b64 v154, v[117:118], v[183:184] offset0:14 offset1:149
	ds_store_2addr_b64 v153, v[195:196], v[197:198] offset0:56 offset1:191
	ds_store_b64 v151, v[185:186] offset:4320
	global_wb scope:SCOPE_SE
	s_wait_dscnt 0x0
	s_barrier_signal -1
	s_barrier_wait -1
	global_inv scope:SCOPE_SE
	global_load_b64 v[117:118], v151, s[8:9] offset:16200
	s_add_nc_u64 s[8:9], s[8:9], 0x3f48
	s_clause 0xd
	global_load_b64 v[181:182], v151, s[8:9] offset:1080
	global_load_b64 v[183:184], v151, s[8:9] offset:10800
	;; [unrolled: 1-line block ×14, first 2 shown]
	ds_load_2addr_b64 v[113:116], v151 offset1:135
	s_wait_loadcnt_dscnt 0xd00
	v_mul_f32_e32 v210, v115, v182
	s_delay_alu instid0(VALU_DEP_1) | instskip(SKIP_1) | instid1(VALU_DEP_2)
	v_dual_fmac_f32 v210, v116, v181 :: v_dual_mul_f32 v177, v114, v118
	v_mul_f32_e32 v119, v113, v118
	v_fma_f32 v118, v113, v117, -v177
	s_delay_alu instid0(VALU_DEP_2)
	v_fmac_f32_e32 v119, v114, v117
	v_mul_f32_e32 v113, v116, v182
	ds_store_b64 v151, v[118:119]
	ds_load_2addr_b64 v[177:180], v157 offset0:70 offset1:205
	ds_load_b64 v[117:118], v151 offset:15120
	v_fma_f32 v209, v115, v181, -v113
	ds_load_2addr_b64 v[113:116], v156 offset0:42 offset1:177
	s_wait_loadcnt_dscnt 0xc02
	v_mul_f32_e32 v119, v178, v184
	v_mul_f32_e32 v182, v177, v184
	s_wait_loadcnt 0xb
	v_mul_f32_e32 v184, v179, v186
	s_delay_alu instid0(VALU_DEP_3) | instskip(NEXT) | instid1(VALU_DEP_3)
	v_fma_f32 v181, v177, v183, -v119
	v_dual_mul_f32 v119, v180, v186 :: v_dual_fmac_f32 v182, v178, v183
	s_delay_alu instid0(VALU_DEP_3) | instskip(SKIP_2) | instid1(VALU_DEP_3)
	v_fmac_f32_e32 v184, v180, v185
	s_wait_loadcnt_dscnt 0xa00
	v_mul_f32_e32 v186, v113, v188
	v_fma_f32 v183, v179, v185, -v119
	ds_load_2addr_b64 v[177:180], v154 offset0:14 offset1:149
	s_wait_loadcnt 0x9
	v_dual_mul_f32 v119, v114, v188 :: v_dual_mul_f32 v188, v115, v190
	v_fmac_f32_e32 v186, v114, v187
	s_delay_alu instid0(VALU_DEP_2) | instskip(SKIP_1) | instid1(VALU_DEP_4)
	v_fma_f32 v185, v113, v187, -v119
	v_mul_f32_e32 v113, v116, v190
	v_fmac_f32_e32 v188, v116, v189
	s_delay_alu instid0(VALU_DEP_2)
	v_fma_f32 v187, v115, v189, -v113
	ds_load_2addr_b64 v[113:116], v155 offset0:84 offset1:219
	s_wait_loadcnt_dscnt 0x801
	v_mul_f32_e32 v119, v178, v192
	v_mul_f32_e32 v190, v177, v192
	s_wait_loadcnt 0x7
	v_mul_f32_e32 v192, v179, v194
	s_delay_alu instid0(VALU_DEP_3) | instskip(NEXT) | instid1(VALU_DEP_3)
	v_fma_f32 v189, v177, v191, -v119
	v_dual_mul_f32 v119, v180, v194 :: v_dual_fmac_f32 v190, v178, v191
	s_delay_alu instid0(VALU_DEP_3) | instskip(NEXT) | instid1(VALU_DEP_2)
	v_fmac_f32_e32 v192, v180, v193
	v_fma_f32 v191, v179, v193, -v119
	ds_load_2addr_b64 v[177:180], v158 offset0:28 offset1:163
	s_wait_loadcnt_dscnt 0x601
	v_mul_f32_e32 v119, v114, v196
	v_mul_f32_e32 v194, v113, v196
	s_wait_loadcnt 0x5
	v_mul_f32_e32 v196, v115, v198
	s_delay_alu instid0(VALU_DEP_3) | instskip(NEXT) | instid1(VALU_DEP_3)
	v_fma_f32 v193, v113, v195, -v119
	v_dual_mul_f32 v113, v116, v198 :: v_dual_fmac_f32 v194, v114, v195
	s_delay_alu instid0(VALU_DEP_3) | instskip(NEXT) | instid1(VALU_DEP_2)
	v_fmac_f32_e32 v196, v116, v197
	v_fma_f32 v195, v115, v197, -v113
	ds_load_2addr_b64 v[113:116], v153 offset0:56 offset1:191
	s_wait_loadcnt_dscnt 0x401
	v_mul_f32_e32 v119, v180, v200
	v_mul_f32_e32 v198, v179, v200
	s_delay_alu instid0(VALU_DEP_2) | instskip(SKIP_1) | instid1(VALU_DEP_2)
	v_fma_f32 v197, v179, v199, -v119
	s_wait_loadcnt 0x3
	v_dual_mul_f32 v119, v178, v202 :: v_dual_fmac_f32 v198, v180, v199
	v_mul_f32_e32 v180, v177, v202
	v_add_nc_u32_e32 v202, 0x400, v151
	s_delay_alu instid0(VALU_DEP_3)
	v_fma_f32 v179, v177, v201, -v119
	s_wait_loadcnt 0x2
	v_mul_f32_e32 v119, v118, v204
	v_fmac_f32_e32 v180, v178, v201
	v_mul_f32_e32 v178, v117, v204
	s_wait_loadcnt_dscnt 0x0
	v_dual_mul_f32 v200, v115, v208 :: v_dual_add_nc_u32 v201, 0x1400, v151
	v_fma_f32 v177, v117, v203, -v119
	v_mul_f32_e32 v117, v114, v206
	v_fmac_f32_e32 v178, v118, v203
	v_dual_mul_f32 v118, v113, v206 :: v_dual_mul_f32 v119, v116, v208
	v_add_nc_u32_e32 v204, 0x1c00, v151
	s_delay_alu instid0(VALU_DEP_4) | instskip(NEXT) | instid1(VALU_DEP_3)
	v_fma_f32 v117, v113, v205, -v117
	v_dual_fmac_f32 v118, v114, v205 :: v_dual_add_nc_u32 v113, 0xc00, v151
	v_add_nc_u32_e32 v114, 0x2400, v151
	v_fma_f32 v199, v115, v207, -v119
	v_fmac_f32_e32 v200, v116, v207
	ds_store_2addr_b64 v201, v[197:198], v[185:186] offset0:35 offset1:170
	ds_store_2addr_b64 v202, v[209:210], v[189:190] offset0:7 offset1:142
	;; [unrolled: 1-line block ×7, first 2 shown]
	global_wb scope:SCOPE_SE
	s_wait_dscnt 0x0
	s_barrier_signal -1
	s_barrier_wait -1
	global_inv scope:SCOPE_SE
	ds_load_2addr_b64 v[113:116], v151 offset1:135
	ds_load_2addr_b64 v[177:180], v158 offset0:28 offset1:163
	ds_load_2addr_b64 v[181:184], v157 offset0:70 offset1:205
	;; [unrolled: 1-line block ×6, first 2 shown]
	s_wait_dscnt 0x5
	v_add_f32_e32 v117, v113, v179
	s_wait_dscnt 0x4
	v_dual_add_f32 v119, v179, v181 :: v_dual_add_f32 v118, v114, v180
	v_add_f32_e32 v201, v180, v182
	s_wait_dscnt 0x0
	v_dual_sub_f32 v203, v179, v181 :: v_dual_sub_f32 v212, v198, v196
	v_add_f32_e32 v208, v187, v193
	v_fma_f32 v113, -0.5, v119, v113
	v_dual_add_f32 v204, v185, v183 :: v_dual_add_f32 v179, v115, v185
	v_sub_f32_e32 v205, v186, v184
	v_sub_f32_e32 v207, v185, v183
	v_add_f32_e32 v117, v117, v181
	v_dual_add_f32 v181, v189, v187 :: v_dual_sub_f32 v210, v188, v194
	v_sub_f32_e32 v211, v187, v193
	v_fma_f32 v115, -0.5, v204, v115
	v_sub_f32_e32 v202, v180, v182
	v_add_f32_e32 v180, v116, v186
	v_fma_f32 v187, -0.5, v208, v189
	v_add_f32_e32 v206, v186, v184
	ds_load_b64 v[185:186], v151 offset:15120
	v_add_f32_e32 v179, v179, v183
	v_add_f32_e32 v183, v191, v197
	;; [unrolled: 1-line block ×4, first 2 shown]
	v_sub_f32_e32 v213, v197, v195
	v_add_f32_e32 v209, v188, v194
	v_add_f32_e32 v183, v183, v195
	;; [unrolled: 1-line block ×3, first 2 shown]
	v_fma_f32 v191, -0.5, v193, v191
	v_dual_add_f32 v118, v118, v182 :: v_dual_fmamk_f32 v193, v205, 0xbf5db3d7, v115
	v_dual_fmac_f32 v115, 0x3f5db3d7, v205 :: v_dual_add_f32 v180, v180, v184
	v_add_f32_e32 v184, v192, v198
	v_fma_f32 v114, -0.5, v201, v114
	v_add_f32_e32 v197, v178, v200
	v_fmamk_f32 v189, v202, 0xbf5db3d7, v113
	s_delay_alu instid0(VALU_DEP_4)
	v_dual_fmac_f32 v113, 0x3f5db3d7, v202 :: v_dual_add_f32 v184, v184, v196
	s_wait_dscnt 0x0
	v_sub_f32_e32 v214, v200, v186
	v_dual_add_f32 v182, v190, v188 :: v_dual_sub_f32 v215, v199, v185
	v_fma_f32 v188, -0.5, v209, v190
	v_fmamk_f32 v190, v203, 0x3f5db3d7, v114
	v_fmac_f32_e32 v114, 0xbf5db3d7, v203
	s_delay_alu instid0(VALU_DEP_4) | instskip(SKIP_4) | instid1(VALU_DEP_4)
	v_add_f32_e32 v182, v182, v194
	v_add_f32_e32 v194, v198, v196
	;; [unrolled: 1-line block ×3, first 2 shown]
	v_dual_add_f32 v198, v200, v186 :: v_dual_add_f32 v185, v195, v185
	v_add_f32_e32 v186, v197, v186
	v_fmac_f32_e32 v192, -0.5, v194
	s_delay_alu instid0(VALU_DEP_4) | instskip(NEXT) | instid1(VALU_DEP_4)
	v_fma_f32 v177, -0.5, v196, v177
	v_fmac_f32_e32 v178, -0.5, v198
	v_fmamk_f32 v196, v211, 0x3f5db3d7, v188
	v_dual_fmac_f32 v188, 0xbf5db3d7, v211 :: v_dual_fmamk_f32 v197, v212, 0xbf5db3d7, v191
	s_delay_alu instid0(VALU_DEP_4)
	v_fmamk_f32 v199, v214, 0xbf5db3d7, v177
	v_fmamk_f32 v195, v210, 0xbf5db3d7, v187
	v_fmac_f32_e32 v187, 0x3f5db3d7, v210
	v_fmac_f32_e32 v116, -0.5, v206
	v_dual_fmamk_f32 v198, v213, 0x3f5db3d7, v192 :: v_dual_fmac_f32 v191, 0x3f5db3d7, v212
	v_fmac_f32_e32 v192, 0xbf5db3d7, v213
	global_wb scope:SCOPE_SE
	v_fmamk_f32 v194, v207, 0x3f5db3d7, v116
	v_fmac_f32_e32 v116, 0xbf5db3d7, v207
	s_barrier_signal -1
	s_barrier_wait -1
	global_inv scope:SCOPE_SE
	v_dual_fmac_f32 v177, 0x3f5db3d7, v214 :: v_dual_fmamk_f32 v200, v215, 0x3f5db3d7, v178
	v_fmac_f32_e32 v178, 0xbf5db3d7, v215
	ds_store_2addr_b64 v108, v[117:118], v[189:190] offset1:1
	ds_store_b64 v108, v[113:114] offset:16
	ds_store_2addr_b64 v112, v[179:180], v[193:194] offset1:1
	ds_store_b64 v112, v[115:116] offset:16
	;; [unrolled: 2-line block ×5, first 2 shown]
	global_wb scope:SCOPE_SE
	s_wait_dscnt 0x0
	s_barrier_signal -1
	s_barrier_wait -1
	global_inv scope:SCOPE_SE
	ds_load_2addr_b64 v[183:186], v153 offset0:56 offset1:191
	ds_load_2addr_b64 v[187:190], v155 offset0:84 offset1:219
	;; [unrolled: 1-line block ×5, first 2 shown]
	ds_load_b64 v[179:180], v151 offset:15120
	ds_load_2addr_b64 v[112:115], v151 offset1:135
	ds_load_2addr_b64 v[116:119], v154 offset0:14 offset1:149
	global_wb scope:SCOPE_SE
	s_wait_dscnt 0x0
	s_barrier_signal -1
	s_barrier_wait -1
	global_inv scope:SCOPE_SE
	v_mul_f32_e32 v177, v105, v184
	v_mul_f32_e32 v105, v105, v183
	;; [unrolled: 1-line block ×11, first 2 shown]
	v_dual_fmac_f32 v95, v90, v195 :: v_dual_mul_f32 v178, v97, v186
	v_mul_f32_e32 v97, v97, v185
	v_fmac_f32_e32 v199, v100, v193
	v_dual_fmac_f32 v200, v92, v191 :: v_dual_fmac_f32 v93, v94, v197
	v_mul_f32_e32 v182, v103, v188
	v_dual_mul_f32 v103, v103, v187 :: v_dual_fmac_f32 v178, v96, v185
	v_fma_f32 v96, v96, v186, -v97
	v_fma_f32 v97, v104, v184, -v105
	v_mul_f32_e32 v105, v99, v179
	v_mul_f32_e32 v203, v91, v195
	v_fmac_f32_e32 v177, v104, v183
	v_mul_f32_e32 v183, v99, v180
	v_fma_f32 v91, v106, v190, -v107
	v_fma_f32 v99, v102, v188, -v103
	;; [unrolled: 1-line block ×5, first 2 shown]
	v_dual_add_f32 v185, v200, v93 :: v_dual_fmac_f32 v182, v102, v187
	v_add_f32_e32 v191, v119, v97
	v_fmac_f32_e32 v181, v106, v189
	v_fma_f32 v92, v94, v198, -v202
	v_dual_fmac_f32 v183, v98, v179 :: v_dual_add_f32 v184, v115, v101
	v_dual_add_f32 v179, v96, v100 :: v_dual_add_f32 v188, v117, v107
	v_sub_f32_e32 v106, v107, v99
	v_add_f32_e32 v187, v107, v99
	v_dual_sub_f32 v107, v199, v182 :: v_dual_mul_f32 v104, v89, v111
	v_sub_f32_e32 v105, v200, v93
	v_mul_f32_e32 v89, v89, v110
	v_fma_f32 v90, v90, v196, -v203
	v_add_f32_e32 v194, v118, v177
	v_dual_fmac_f32 v104, v88, v110 :: v_dual_add_f32 v193, v177, v181
	s_delay_alu instid0(VALU_DEP_4) | instskip(SKIP_2) | instid1(VALU_DEP_4)
	v_fma_f32 v102, v88, v111, -v89
	v_sub_f32_e32 v111, v177, v181
	v_sub_f32_e32 v177, v96, v100
	v_add_f32_e32 v88, v104, v95
	s_delay_alu instid0(VALU_DEP_4) | instskip(SKIP_3) | instid1(VALU_DEP_3)
	v_dual_sub_f32 v103, v104, v95 :: v_dual_add_f32 v94, v113, v102
	v_dual_add_f32 v89, v102, v90 :: v_dual_add_f32 v98, v112, v104
	v_dual_sub_f32 v102, v102, v90 :: v_dual_add_f32 v195, v109, v96
	v_sub_f32_e32 v110, v97, v91
	v_fma_f32 v89, -0.5, v89, v113
	v_dual_add_f32 v192, v97, v91 :: v_dual_add_f32 v97, v94, v90
	v_dual_add_f32 v96, v98, v95 :: v_dual_add_f32 v95, v184, v92
	v_sub_f32_e32 v104, v101, v92
	v_add_f32_e32 v101, v101, v92
	v_dual_add_f32 v186, v114, v200 :: v_dual_add_f32 v91, v191, v91
	v_add_f32_e32 v189, v199, v182
	v_fma_f32 v88, -0.5, v88, v112
	s_delay_alu instid0(VALU_DEP_4)
	v_dual_fmac_f32 v115, -0.5, v101 :: v_dual_add_f32 v180, v178, v183
	v_fma_f32 v114, -0.5, v185, v114
	v_dual_add_f32 v94, v186, v93 :: v_dual_add_f32 v93, v188, v99
	v_fma_f32 v98, -0.5, v189, v116
	v_fma_f32 v99, -0.5, v187, v117
	v_dual_fmamk_f32 v113, v103, 0x3f5db3d7, v89 :: v_dual_add_f32 v190, v116, v199
	v_dual_fmac_f32 v119, -0.5, v192 :: v_dual_add_f32 v196, v108, v178
	v_fmac_f32_e32 v89, 0xbf5db3d7, v103
	v_sub_f32_e32 v178, v178, v183
	v_fma_f32 v118, -0.5, v193, v118
	v_fmac_f32_e32 v109, -0.5, v179
	v_fmamk_f32 v103, v105, 0x3f5db3d7, v115
	v_fmac_f32_e32 v115, 0xbf5db3d7, v105
	v_fma_f32 v108, -0.5, v180, v108
	v_fmamk_f32 v112, v102, 0xbf5db3d7, v88
	v_fmac_f32_e32 v88, 0x3f5db3d7, v102
	v_fmamk_f32 v102, v104, 0xbf5db3d7, v114
	v_fmac_f32_e32 v114, 0x3f5db3d7, v104
	v_add_f32_e32 v92, v190, v182
	v_fmamk_f32 v104, v106, 0xbf5db3d7, v98
	v_dual_fmamk_f32 v105, v107, 0x3f5db3d7, v99 :: v_dual_fmac_f32 v98, 0x3f5db3d7, v106
	v_dual_fmac_f32 v99, 0xbf5db3d7, v107 :: v_dual_add_f32 v90, v194, v181
	v_dual_add_f32 v101, v195, v100 :: v_dual_add_f32 v100, v196, v183
	v_fmamk_f32 v106, v110, 0xbf5db3d7, v118
	v_dual_fmamk_f32 v107, v111, 0x3f5db3d7, v119 :: v_dual_fmac_f32 v118, 0x3f5db3d7, v110
	v_dual_fmac_f32 v119, 0xbf5db3d7, v111 :: v_dual_fmamk_f32 v110, v177, 0xbf5db3d7, v108
	v_dual_fmamk_f32 v111, v178, 0x3f5db3d7, v109 :: v_dual_fmac_f32 v108, 0x3f5db3d7, v177
	v_fmac_f32_e32 v109, 0xbf5db3d7, v178
	ds_store_2addr_b64 v166, v[96:97], v[112:113] offset1:3
	ds_store_b64 v166, v[88:89] offset:48
	ds_store_2addr_b64 v169, v[94:95], v[102:103] offset1:3
	ds_store_b64 v169, v[114:115] offset:48
	;; [unrolled: 2-line block ×5, first 2 shown]
	global_wb scope:SCOPE_SE
	s_wait_dscnt 0x0
	s_barrier_signal -1
	s_barrier_wait -1
	global_inv scope:SCOPE_SE
	ds_load_b64 v[168:169], v151 offset:15120
	ds_load_2addr_b64 v[92:95], v157 offset0:70 offset1:205
	ds_load_2addr_b64 v[96:99], v155 offset0:84 offset1:219
	;; [unrolled: 1-line block ×6, first 2 shown]
	ds_load_2addr_b64 v[116:119], v151 offset1:135
	v_mad_co_u64_u32 v[90:91], null, s4, v152, 0
	global_wb scope:SCOPE_SE
	s_wait_dscnt 0x0
	s_barrier_signal -1
	s_barrier_wait -1
	global_inv scope:SCOPE_SE
	v_mad_co_u64_u32 v[88:89], null, s6, v150, 0
	v_dual_mul_f32 v179, v53, v103 :: v_dual_mul_f32 v166, v67, v169
	v_mul_f32_e32 v53, v53, v102
	v_mul_f32_e32 v170, v65, v95
	;; [unrolled: 1-line block ×5, first 2 shown]
	v_dual_mul_f32 v178, v55, v97 :: v_dual_mul_f32 v181, v57, v107
	v_mul_f32_e32 v55, v55, v96
	v_dual_mul_f32 v180, v59, v101 :: v_dual_mul_f32 v57, v57, v106
	v_dual_mul_f32 v182, v49, v105 :: v_dual_mul_f32 v183, v51, v111
	;; [unrolled: 1-line block ×3, first 2 shown]
	v_mul_f32_e32 v51, v51, v110
	v_dual_mul_f32 v47, v47, v108 :: v_dual_fmac_f32 v170, v64, v94
	v_dual_mul_f32 v185, v45, v115 :: v_dual_fmac_f32 v166, v66, v168
	;; [unrolled: 1-line block ×3, first 2 shown]
	v_mul_f32_e32 v67, v67, v168
	v_mul_f32_e32 v61, v61, v92
	;; [unrolled: 1-line block ×4, first 2 shown]
	v_fma_f32 v64, v64, v95, -v65
	v_dual_fmac_f32 v177, v62, v98 :: v_dual_fmac_f32 v182, v48, v104
	v_fma_f32 v65, v54, v97, -v55
	v_dual_fmac_f32 v179, v52, v102 :: v_dual_fmac_f32 v180, v58, v100
	v_fmac_f32_e32 v171, v60, v92
	v_fma_f32 v52, v52, v103, -v53
	v_dual_fmac_f32 v181, v56, v106 :: v_dual_fmac_f32 v184, v46, v108
	v_fma_f32 v54, v56, v107, -v57
	v_fma_f32 v48, v48, v105, -v49
	v_fmac_f32_e32 v185, v44, v114
	v_fma_f32 v56, v46, v109, -v47
	v_fma_f32 v44, v44, v115, -v45
	v_fmac_f32_e32 v183, v50, v110
	v_fma_f32 v168, v66, v169, -v67
	v_fma_f32 v60, v60, v93, -v61
	;; [unrolled: 1-line block ×5, first 2 shown]
	v_sub_f32_e32 v50, v44, v56
	v_dual_sub_f32 v46, v178, v179 :: v_dual_sub_f32 v51, v65, v52
	v_add_f32_e32 v62, v44, v65
	v_sub_f32_e32 v58, v179, v178
	v_add_f32_e32 v92, v119, v48
	v_sub_f32_e32 v45, v185, v184
	v_dual_sub_f32 v57, v184, v185 :: v_dual_sub_f32 v96, v177, v171
	v_dual_add_f32 v59, v185, v178 :: v_dual_add_f32 v98, v182, v177
	v_dual_add_f32 v93, v183, v171 :: v_dual_add_f32 v106, v180, v170
	v_dual_sub_f32 v95, v183, v182 :: v_dual_sub_f32 v100, v48, v55
	v_dual_sub_f32 v97, v171, v177 :: v_dual_add_f32 v102, v48, v67
	v_dual_add_f32 v105, v112, v181 :: v_dual_add_f32 v190, v117, v44
	v_dual_add_f32 v191, v116, v185 :: v_dual_add_f32 v202, v50, v51
	;; [unrolled: 1-line block ×3, first 2 shown]
	v_dual_add_f32 v49, v56, v52 :: v_dual_sub_f32 v94, v182, v183
	v_dual_sub_f32 v61, v56, v44 :: v_dual_sub_f32 v110, v170, v166
	v_dual_sub_f32 v63, v52, v65 :: v_dual_add_f32 v114, v53, v64
	v_dual_sub_f32 v101, v55, v48 :: v_dual_sub_f32 v108, v180, v181
	v_dual_sub_f32 v103, v67, v60 :: v_dual_sub_f32 v192, v44, v65
	;; [unrolled: 1-line block ×4, first 2 shown]
	v_dual_add_f32 v111, v181, v166 :: v_dual_sub_f32 v188, v64, v168
	v_dual_sub_f32 v115, v54, v53 :: v_dual_sub_f32 v196, v55, v60
	v_dual_sub_f32 v169, v53, v54 :: v_dual_sub_f32 v182, v182, v177
	v_dual_add_f32 v187, v54, v168 :: v_dual_sub_f32 v198, v180, v170
	v_dual_add_f32 v189, v113, v54 :: v_dual_sub_f32 v200, v54, v168
	v_sub_f32_e32 v193, v56, v52
	v_dual_sub_f32 v195, v183, v171 :: v_dual_add_f32 v54, v190, v56
	v_sub_f32_e32 v197, v48, v67
	v_dual_add_f32 v201, v45, v46 :: v_dual_add_f32 v56, v191, v184
	v_add_f32_e32 v203, v57, v58
	v_fma_f32 v48, -0.5, v93, v118
	v_fma_f32 v118, -0.5, v98, v118
	v_dual_add_f32 v95, v95, v97 :: v_dual_add_f32 v58, v105, v180
	v_dual_add_f32 v99, v55, v60 :: v_dual_sub_f32 v104, v60, v67
	v_dual_sub_f32 v185, v185, v178 :: v_dual_add_f32 v94, v94, v96
	v_fma_f32 v44, -0.5, v47, v116
	v_fma_f32 v45, -0.5, v49, v117
	v_dual_sub_f32 v181, v181, v166 :: v_dual_add_f32 v96, v100, v103
	v_dual_sub_f32 v199, v53, v64 :: v_dual_add_f32 v100, v115, v186
	v_fma_f32 v46, -0.5, v59, v116
	v_fma_f32 v47, -0.5, v62, v117
	;; [unrolled: 1-line block ×4, first 2 shown]
	v_add_f32_e32 v59, v189, v53
	v_dual_add_f32 v103, v58, v170 :: v_dual_fmamk_f32 v58, v196, 0x3f737871, v118
	v_add_f32_e32 v55, v92, v55
	v_fma_f32 v49, -0.5, v99, v119
	v_add_f32_e32 v57, v66, v183
	v_dual_fmac_f32 v119, -0.5, v102 :: v_dual_add_f32 v92, v54, v52
	v_fma_f32 v51, -0.5, v114, v113
	v_add_f32_e32 v116, v61, v63
	v_dual_add_f32 v97, v101, v104 :: v_dual_fmamk_f32 v52, v192, 0xbf737871, v44
	v_dual_add_f32 v98, v107, v109 :: v_dual_fmac_f32 v113, -0.5, v187
	v_fmamk_f32 v54, v193, 0x3f737871, v46
	v_fmamk_f32 v53, v185, 0x3f737871, v45
	v_dual_add_f32 v101, v169, v188 :: v_dual_fmac_f32 v46, 0xbf737871, v193
	v_dual_add_f32 v104, v59, v64 :: v_dual_add_f32 v99, v108, v110
	v_dual_add_f32 v102, v55, v60 :: v_dual_fmamk_f32 v55, v194, 0xbf737871, v47
	v_dual_fmac_f32 v47, 0x3f737871, v194 :: v_dual_fmac_f32 v44, 0x3f737871, v192
	v_dual_fmac_f32 v45, 0xbf737871, v185 :: v_dual_fmamk_f32 v60, v200, 0xbf737871, v50
	v_add_f32_e32 v66, v56, v179
	v_dual_add_f32 v93, v57, v171 :: v_dual_fmac_f32 v118, 0xbf737871, v196
	v_fmamk_f32 v56, v197, 0xbf737871, v48
	v_dual_fmamk_f32 v57, v182, 0x3f737871, v49 :: v_dual_fmac_f32 v48, 0x3f737871, v197
	v_fmac_f32_e32 v49, 0xbf737871, v182
	v_dual_fmamk_f32 v59, v195, 0xbf737871, v119 :: v_dual_add_f32 v64, v66, v178
	v_fmac_f32_e32 v50, 0x3f737871, v200
	v_dual_fmamk_f32 v62, v199, 0x3f737871, v112 :: v_dual_fmac_f32 v119, 0x3f737871, v195
	v_fmamk_f32 v61, v181, 0x3f737871, v51
	v_dual_fmac_f32 v51, 0xbf737871, v181 :: v_dual_fmac_f32 v112, 0xbf737871, v199
	v_fmamk_f32 v63, v198, 0xbf737871, v113
	v_fmac_f32_e32 v113, 0x3f737871, v198
	v_dual_fmac_f32 v52, 0xbf167918, v193 :: v_dual_fmac_f32 v45, 0xbf167918, v194
	v_dual_fmac_f32 v53, 0x3f167918, v194 :: v_dual_fmac_f32 v44, 0x3f167918, v193
	v_dual_add_f32 v65, v92, v65 :: v_dual_fmac_f32 v54, 0xbf167918, v192
	v_dual_fmac_f32 v46, 0x3f167918, v192 :: v_dual_fmac_f32 v55, 0x3f167918, v185
	v_dual_fmac_f32 v47, 0xbf167918, v185 :: v_dual_fmac_f32 v56, 0xbf167918, v196
	v_add_f32_e32 v66, v93, v177
	v_dual_fmac_f32 v118, 0x3f167918, v197 :: v_dual_fmac_f32 v57, 0x3f167918, v195
	v_dual_add_f32 v67, v102, v67 :: v_dual_fmac_f32 v48, 0x3f167918, v196
	v_dual_add_f32 v92, v103, v166 :: v_dual_add_f32 v93, v104, v168
	v_dual_fmac_f32 v58, 0xbf167918, v197 :: v_dual_fmac_f32 v49, 0xbf167918, v195
	v_fmac_f32_e32 v62, 0xbf167918, v200
	v_dual_fmac_f32 v59, 0x3f167918, v182 :: v_dual_fmac_f32 v50, 0x3f167918, v199
	v_dual_fmac_f32 v119, 0xbf167918, v182 :: v_dual_fmac_f32 v60, 0xbf167918, v199
	v_fmac_f32_e32 v51, 0xbf167918, v198
	v_dual_fmac_f32 v112, 0x3f167918, v200 :: v_dual_fmac_f32 v61, 0x3f167918, v198
	v_fmac_f32_e32 v63, 0x3f167918, v181
	v_fmac_f32_e32 v113, 0xbf167918, v181
	v_dual_fmac_f32 v52, 0x3e9e377a, v201 :: v_dual_fmac_f32 v53, 0x3e9e377a, v202
	v_dual_fmac_f32 v54, 0x3e9e377a, v203 :: v_dual_fmac_f32 v55, 0x3e9e377a, v116
	;; [unrolled: 1-line block ×12, first 2 shown]
	ds_store_2addr_b64 v161, v[64:65], v[52:53] offset1:9
	ds_store_2addr_b64 v161, v[54:55], v[46:47] offset0:18 offset1:27
	ds_store_b64 v161, v[44:45] offset:288
	ds_store_2addr_b64 v163, v[66:67], v[56:57] offset1:9
	ds_store_2addr_b64 v163, v[58:59], v[118:119] offset0:18 offset1:27
	ds_store_b64 v163, v[48:49] offset:288
	;; [unrolled: 3-line block ×3, first 2 shown]
	global_wb scope:SCOPE_SE
	s_wait_dscnt 0x0
	s_barrier_signal -1
	s_barrier_wait -1
	global_inv scope:SCOPE_SE
	ds_load_2addr_b64 v[44:47], v154 offset0:14 offset1:149
	ds_load_2addr_b64 v[48:51], v156 offset0:42 offset1:177
	v_mad_co_u64_u32 v[60:61], null, s7, v150, v[89:90]
	v_mov_b32_e32 v56, v91
	ds_load_2addr_b64 v[52:55], v158 offset0:28 offset1:163
	s_load_b64 s[6:7], s[0:1], 0x38
	s_mul_u64 s[0:1], s[4:5], 0x1518
	v_mad_co_u64_u32 v[95:96], null, s5, v152, v[56:57]
	ds_load_2addr_b64 v[56:59], v153 offset0:56 offset1:191
	s_mov_b32 s4, 0xc0898b71
	s_mov_b32 s5, 0x3f402e85
	s_wait_dscnt 0x3
	v_mul_f32_e32 v98, v21, v47
	s_wait_dscnt 0x2
	v_dual_mul_f32 v100, v15, v51 :: v_dual_mov_b32 v89, v60
	ds_load_2addr_b64 v[60:63], v155 offset0:84 offset1:219
	ds_load_2addr_b64 v[64:67], v157 offset0:70 offset1:205
	ds_load_b64 v[96:97], v151 offset:15120
	ds_load_2addr_b64 v[91:94], v151 offset1:135
	v_dual_mul_f32 v99, v23, v49 :: v_dual_fmac_f32 v98, v20, v46
	s_wait_dscnt 0x5
	v_dual_mul_f32 v102, v17, v55 :: v_dual_mul_f32 v23, v23, v48
	v_fmac_f32_e32 v100, v14, v50
	global_wb scope:SCOPE_SE
	s_wait_dscnt 0x0
	s_wait_kmcnt 0x0
	s_barrier_signal -1
	v_fmac_f32_e32 v102, v16, v54
	v_mul_f32_e32 v104, v9, v59
	v_mul_f32_e32 v101, v13, v53
	s_barrier_wait -1
	global_inv scope:SCOPE_SE
	v_fmac_f32_e32 v104, v8, v58
	v_dual_fmac_f32 v101, v12, v52 :: v_dual_mul_f32 v106, v3, v63
	v_mul_f32_e32 v107, v1, v65
	v_mul_f32_e32 v13, v13, v52
	v_dual_mul_f32 v109, v7, v97 :: v_dual_mul_f32 v108, v5, v67
	s_delay_alu instid0(VALU_DEP_3)
	v_dual_fmac_f32 v106, v2, v62 :: v_dual_fmac_f32 v107, v0, v64
	v_fmac_f32_e32 v99, v22, v48
	v_mul_f32_e32 v21, v21, v46
	v_mul_f32_e32 v7, v7, v96
	v_fma_f32 v12, v12, v53, -v13
	v_mul_f32_e32 v5, v5, v66
	v_dual_mul_f32 v103, v19, v57 :: v_dual_fmac_f32 v108, v4, v66
	v_fma_f32 v20, v20, v47, -v21
	v_mul_f32_e32 v105, v11, v61
	v_fma_f32 v21, v22, v49, -v23
	v_mul_f32_e32 v11, v11, v60
	;; [unrolled: 2-line block ×3, first 2 shown]
	v_fmac_f32_e32 v105, v10, v60
	v_mul_f32_e32 v17, v17, v54
	v_mul_f32_e32 v9, v9, v58
	v_dual_mul_f32 v15, v15, v50 :: v_dual_sub_f32 v54, v101, v100
	v_dual_fmac_f32 v109, v6, v96 :: v_dual_add_f32 v96, v44, v102
	v_sub_f32_e32 v6, v104, v105
	v_fma_f32 v13, v16, v55, -v17
	v_sub_f32_e32 v50, v98, v105
	v_fma_f32 v8, v8, v59, -v9
	;; [unrolled: 2-line block ×3, first 2 shown]
	v_mul_f32_e32 v1, v1, v64
	v_mul_f32_e32 v19, v19, v56
	v_add_f32_e32 v46, v94, v12
	v_fma_f32 v10, v4, v67, -v5
	v_sub_f32_e32 v48, v20, v22
	v_add_f32_e32 v4, v98, v105
	v_fma_f32 v14, v14, v51, -v15
	v_sub_f32_e32 v52, v8, v22
	v_fma_f32 v9, v0, v65, -v1
	v_fma_f32 v15, v18, v57, -v19
	v_dual_add_f32 v0, v91, v98 :: v_dual_add_f32 v7, v92, v20
	s_delay_alu instid0(VALU_DEP_3) | instskip(SKIP_4) | instid1(VALU_DEP_4)
	v_dual_sub_f32 v19, v21, v20 :: v_dual_add_f32 v62, v14, v9
	v_dual_fmac_f32 v103, v18, v56 :: v_dual_sub_f32 v60, v101, v106
	v_add_f32_e32 v18, v20, v22
	v_add_f32_e32 v20, v93, v101
	v_fma_f32 v23, v2, v63, -v3
	v_dual_sub_f32 v49, v21, v8 :: v_dual_sub_f32 v110, v103, v102
	v_dual_add_f32 v11, v21, v8 :: v_dual_sub_f32 v118, v15, v13
	v_dual_sub_f32 v17, v22, v8 :: v_dual_sub_f32 v150, v47, v10
	v_sub_f32_e32 v64, v14, v12
	v_dual_sub_f32 v66, v23, v9 :: v_dual_add_f32 v53, v100, v107
	v_dual_sub_f32 v57, v106, v107 :: v_dual_add_f32 v20, v20, v100
	v_sub_f32_e32 v58, v107, v106
	v_dual_add_f32 v1, v99, v104 :: v_dual_add_f32 v114, v102, v109
	v_dual_sub_f32 v2, v98, v99 :: v_dual_sub_f32 v5, v99, v98
	v_dual_sub_f32 v51, v99, v104 :: v_dual_sub_f32 v152, v10, v47
	v_sub_f32_e32 v63, v12, v14
	v_dual_sub_f32 v65, v12, v23 :: v_dual_add_f32 v54, v54, v57
	v_dual_add_f32 v12, v12, v23 :: v_dual_sub_f32 v3, v105, v104
	v_sub_f32_e32 v67, v9, v23
	v_add_f32_e32 v97, v45, v13
	v_add_f32_e32 v99, v0, v99
	v_dual_add_f32 v59, v101, v106 :: v_dual_add_f32 v98, v103, v108
	v_dual_add_f32 v116, v15, v10 :: v_dual_sub_f32 v55, v100, v101
	v_sub_f32_e32 v112, v109, v108
	v_dual_sub_f32 v56, v100, v107 :: v_dual_sub_f32 v61, v14, v9
	v_dual_sub_f32 v117, v13, v15 :: v_dual_add_f32 v14, v46, v14
	v_dual_add_f32 v46, v96, v103 :: v_dual_sub_f32 v115, v15, v10
	v_fma_f32 v0, -0.5, v1, v91
	v_sub_f32_e32 v119, v13, v47
	v_add_f32_e32 v13, v13, v47
	v_fma_f32 v1, -0.5, v11, v92
	v_add_f32_e32 v100, v16, v17
	v_dual_add_f32 v57, v64, v67 :: v_dual_add_f32 v64, v99, v104
	v_sub_f32_e32 v101, v102, v103
	v_sub_f32_e32 v102, v102, v109
	v_add_f32_e32 v96, v2, v3
	v_fma_f32 v2, -0.5, v4, v91
	v_add_f32_e32 v15, v97, v15
	v_fma_f32 v4, -0.5, v53, v93
	;; [unrolled: 2-line block ×4, first 2 shown]
	v_fma_f32 v93, -0.5, v59, v93
	v_fmac_f32_e32 v94, -0.5, v12
	v_fma_f32 v6, -0.5, v98, v44
	v_fma_f32 v7, -0.5, v116, v45
	v_sub_f32_e32 v111, v103, v108
	v_fma_f32 v44, -0.5, v114, v44
	v_dual_add_f32 v62, v117, v150 :: v_dual_sub_f32 v113, v108, v109
	v_dual_add_f32 v46, v46, v108 :: v_dual_add_f32 v91, v15, v10
	v_dual_fmamk_f32 v10, v49, 0x3f737871, v2 :: v_dual_add_f32 v67, v14, v9
	v_fmamk_f32 v9, v50, 0x3f737871, v1
	v_fmamk_f32 v12, v65, 0xbf737871, v4
	v_dual_add_f32 v21, v21, v8 :: v_dual_fmamk_f32 v8, v48, 0xbf737871, v0
	v_dual_fmac_f32 v0, 0x3f737871, v48 :: v_dual_fmac_f32 v45, -0.5, v13
	v_fmamk_f32 v18, v115, 0x3f737871, v44
	v_add_f32_e32 v52, v19, v52
	v_dual_add_f32 v53, v55, v58 :: v_dual_fmamk_f32 v14, v61, 0x3f737871, v93
	v_dual_add_f32 v55, v63, v66 :: v_dual_add_f32 v66, v20, v107
	v_dual_fmac_f32 v2, 0xbf737871, v49 :: v_dual_fmamk_f32 v11, v51, 0xbf737871, v3
	v_fmac_f32_e32 v3, 0x3f737871, v51
	v_fmac_f32_e32 v1, 0xbf737871, v50
	v_fmamk_f32 v13, v60, 0x3f737871, v5
	v_fmac_f32_e32 v93, 0xbf737871, v61
	v_fmac_f32_e32 v5, 0xbf737871, v60
	v_fmamk_f32 v15, v56, 0xbf737871, v94
	v_fmac_f32_e32 v94, 0x3f737871, v56
	v_fmamk_f32 v16, v119, 0xbf737871, v6
	v_dual_fmamk_f32 v17, v102, 0x3f737871, v7 :: v_dual_add_f32 v58, v101, v112
	v_dual_add_f32 v59, v110, v113 :: v_dual_fmac_f32 v6, 0x3f737871, v119
	v_dual_add_f32 v63, v118, v152 :: v_dual_fmac_f32 v44, 0xbf737871, v115
	v_fmac_f32_e32 v4, 0x3f737871, v65
	v_fmac_f32_e32 v7, 0xbf737871, v102
	v_fmamk_f32 v19, v111, 0xbf737871, v45
	v_dual_fmac_f32 v45, 0x3f737871, v111 :: v_dual_add_f32 v20, v64, v105
	v_dual_add_f32 v21, v21, v22 :: v_dual_fmac_f32 v8, 0xbf167918, v49
	v_fmac_f32_e32 v10, 0xbf167918, v48
	v_dual_fmac_f32 v9, 0x3f167918, v51 :: v_dual_fmac_f32 v4, 0x3f167918, v61
	v_add_f32_e32 v22, v66, v106
	v_dual_add_f32 v46, v46, v109 :: v_dual_add_f32 v47, v91, v47
	v_dual_fmac_f32 v2, 0x3f167918, v48 :: v_dual_fmac_f32 v11, 0x3f167918, v50
	v_fmac_f32_e32 v6, 0x3f167918, v115
	v_dual_fmac_f32 v3, 0xbf167918, v50 :: v_dual_fmac_f32 v14, 0xbf167918, v65
	v_dual_add_f32 v23, v67, v23 :: v_dual_fmac_f32 v0, 0x3f167918, v49
	v_dual_fmac_f32 v1, 0xbf167918, v51 :: v_dual_fmac_f32 v12, 0xbf167918, v61
	v_fmac_f32_e32 v13, 0x3f167918, v56
	v_dual_fmac_f32 v93, 0x3f167918, v65 :: v_dual_fmac_f32 v44, 0x3f167918, v119
	v_dual_fmac_f32 v5, 0xbf167918, v56 :: v_dual_fmac_f32 v16, 0xbf167918, v115
	v_fmac_f32_e32 v15, 0x3f167918, v60
	v_dual_fmac_f32 v94, 0xbf167918, v60 :: v_dual_fmac_f32 v7, 0xbf167918, v111
	v_fmac_f32_e32 v17, 0x3f167918, v111
	;; [unrolled: 2-line block ×3, first 2 shown]
	v_dual_fmac_f32 v8, 0x3e9e377a, v96 :: v_dual_fmac_f32 v93, 0x3e9e377a, v53
	v_dual_fmac_f32 v10, 0x3e9e377a, v97 :: v_dual_fmac_f32 v9, 0x3e9e377a, v100
	;; [unrolled: 1-line block ×11, first 2 shown]
	v_dual_fmac_f32 v44, 0x3e9e377a, v59 :: v_dual_mov_b32 v91, v95
	v_fmac_f32_e32 v45, 0x3e9e377a, v63
	ds_store_2addr_b64 v167, v[20:21], v[8:9] offset1:45
	ds_store_2addr_b64 v167, v[10:11], v[2:3] offset0:90 offset1:135
	ds_store_b64 v167, v[0:1] offset:1440
	ds_store_2addr_b64 v164, v[22:23], v[12:13] offset1:45
	ds_store_2addr_b64 v164, v[14:15], v[93:94] offset0:90 offset1:135
	ds_store_b64 v164, v[4:5] offset:1440
	;; [unrolled: 3-line block ×3, first 2 shown]
	v_lshlrev_b64_e32 v[16:17], 3, v[88:89]
	global_wb scope:SCOPE_SE
	s_wait_dscnt 0x0
	s_barrier_signal -1
	s_barrier_wait -1
	global_inv scope:SCOPE_SE
	ds_load_2addr_b64 v[8:11], v156 offset0:42 offset1:177
	v_add_co_u32 v52, vcc_lo, s6, v16
	ds_load_2addr_b64 v[0:3], v158 offset0:28 offset1:163
	ds_load_2addr_b64 v[4:7], v157 offset0:70 offset1:205
	;; [unrolled: 1-line block ×3, first 2 shown]
	s_wait_alu 0xfffd
	v_add_co_ci_u32_e32 v53, vcc_lo, s7, v17, vcc_lo
	ds_load_2addr_b64 v[16:19], v153 offset0:56 offset1:191
	ds_load_2addr_b64 v[20:23], v151 offset1:135
	ds_load_2addr_b64 v[44:47], v154 offset0:14 offset1:149
	ds_load_b64 v[50:51], v151 offset:15120
	global_wb scope:SCOPE_SE
	s_wait_dscnt 0x0
	s_barrier_signal -1
	s_barrier_wait -1
	global_inv scope:SCOPE_SE
	v_lshlrev_b64_e32 v[48:49], 3, v[90:91]
	v_mul_f32_e32 v58, v25, v11
	v_mul_f32_e32 v56, v33, v9
	;; [unrolled: 1-line block ×3, first 2 shown]
	v_dual_mul_f32 v57, v35, v7 :: v_dual_mul_f32 v60, v29, v17
	s_delay_alu instid0(VALU_DEP_4) | instskip(SKIP_2) | instid1(VALU_DEP_4)
	v_dual_mul_f32 v29, v29, v16 :: v_dual_fmac_f32 v58, v24, v10
	v_mul_f32_e32 v62, v41, v19
	v_fmac_f32_e32 v56, v32, v8
	v_dual_fmac_f32 v60, v28, v16 :: v_dual_mul_f32 v35, v35, v6
	v_fmac_f32_e32 v57, v34, v6
	v_fma_f32 v6, v28, v17, -v29
	v_add_f32_e32 v28, v44, v58
	v_mul_f32_e32 v41, v41, v18
	v_fma_f32 v7, v34, v7, -v35
	v_mul_f32_e32 v55, v39, v5
	v_dual_mul_f32 v33, v33, v8 :: v_dual_fmac_f32 v62, v40, v18
	v_mul_f32_e32 v59, v27, v13
	v_fma_f32 v8, v40, v19, -v41
	v_mul_f32_e32 v27, v27, v12
	v_fmac_f32_e32 v55, v38, v4
	v_dual_add_f32 v16, v22, v56 :: v_dual_mul_f32 v61, v31, v15
	v_mul_f32_e32 v31, v31, v14
	v_dual_mul_f32 v39, v39, v4 :: v_dual_fmac_f32 v54, v36, v2
	v_fma_f32 v4, v32, v9, -v33
	v_mul_f32_e32 v37, v37, v2
	v_fma_f32 v9, v26, v13, -v27
	v_fma_f32 v13, v30, v15, -v31
	v_mul_f32_e32 v25, v25, v10
	v_add_f32_e32 v40, v0, v62
	v_fma_f32 v2, v36, v3, -v37
	v_fma_f32 v3, v38, v5, -v39
	v_add_f32_e32 v38, v6, v13
	v_fma_f32 v5, v24, v11, -v25
	v_add_f32_e32 v11, v54, v55
	v_dual_sub_f32 v24, v4, v7 :: v_dual_fmac_f32 v59, v26, v12
	v_dual_add_f32 v25, v23, v4 :: v_dual_add_f32 v26, v4, v7
	v_sub_f32_e32 v36, v6, v13
	v_sub_f32_e32 v17, v2, v3
	v_fma_f32 v4, -0.5, v11, v20
	v_dual_add_f32 v37, v47, v6 :: v_dual_add_f32 v6, v16, v57
	v_add_f32_e32 v31, v45, v5
	v_add_f32_e32 v32, v5, v9
	s_delay_alu instid0(VALU_DEP_4)
	v_fmamk_f32 v16, v17, 0xbf5db3d7, v4
	v_fmac_f32_e32 v4, 0x3f5db3d7, v17
	v_dual_add_f32 v19, v56, v57 :: v_dual_sub_f32 v18, v54, v55
	v_add_f32_e32 v12, v21, v2
	v_add_f32_e32 v34, v46, v60
	;; [unrolled: 1-line block ×3, first 2 shown]
	s_delay_alu instid0(VALU_DEP_4) | instskip(SKIP_4) | instid1(VALU_DEP_3)
	v_fma_f32 v22, -0.5, v19, v22
	v_fmac_f32_e32 v61, v30, v14
	v_add_f32_e32 v14, v2, v3
	v_dual_sub_f32 v30, v5, v9 :: v_dual_add_f32 v3, v12, v3
	v_dual_fmac_f32 v23, -0.5, v26 :: v_dual_add_f32 v2, v10, v55
	v_fma_f32 v5, -0.5, v14, v21
	v_fma_f32 v11, -0.5, v32, v45
	v_fmac_f32_e32 v47, -0.5, v38
	v_add_f32_e32 v9, v31, v9
	v_add_f32_e32 v13, v37, v13
	v_fmamk_f32 v17, v18, 0x3f5db3d7, v5
	v_dual_fmac_f32 v5, 0xbf5db3d7, v18 :: v_dual_fmamk_f32 v18, v24, 0xbf5db3d7, v22
	v_dual_fmac_f32 v22, 0x3f5db3d7, v24 :: v_dual_add_f32 v35, v60, v61
	v_dual_mul_f32 v63, v43, v51 :: v_dual_add_f32 v12, v34, v61
	v_add_f32_e32 v29, v58, v59
	v_sub_f32_e32 v33, v58, v59
	s_delay_alu instid0(VALU_DEP_4) | instskip(NEXT) | instid1(VALU_DEP_4)
	v_fma_f32 v46, -0.5, v35, v46
	v_fmac_f32_e32 v63, v42, v50
	v_sub_f32_e32 v39, v60, v61
	v_fma_f32 v10, -0.5, v29, v44
	v_fmamk_f32 v21, v33, 0x3f5db3d7, v11
	v_dual_fmamk_f32 v24, v36, 0xbf5db3d7, v46 :: v_dual_mul_f32 v43, v43, v50
	v_add_f32_e32 v14, v40, v63
	v_add_f32_e32 v41, v62, v63
	v_fmamk_f32 v20, v30, 0xbf5db3d7, v10
	v_fmac_f32_e32 v10, 0x3f5db3d7, v30
	v_fma_f32 v15, v42, v51, -v43
	v_add_f32_e32 v43, v1, v8
	v_fma_f32 v0, -0.5, v41, v0
	v_sub_f32_e32 v51, v62, v63
	s_delay_alu instid0(VALU_DEP_4) | instskip(SKIP_4) | instid1(VALU_DEP_4)
	v_dual_fmac_f32 v11, 0xbf5db3d7, v33 :: v_dual_add_f32 v50, v8, v15
	v_sub_f32_e32 v42, v8, v15
	v_sub_f32_e32 v27, v56, v57
	v_add_f32_e32 v8, v28, v59
	v_add_f32_e32 v15, v43, v15
	v_dual_fmac_f32 v1, -0.5, v50 :: v_dual_fmamk_f32 v26, v42, 0xbf5db3d7, v0
	v_dual_add_f32 v7, v25, v7 :: v_dual_fmac_f32 v0, 0x3f5db3d7, v42
	v_fmamk_f32 v19, v27, 0x3f5db3d7, v23
	v_fmac_f32_e32 v23, 0xbf5db3d7, v27
	v_dual_fmamk_f32 v25, v39, 0x3f5db3d7, v47 :: v_dual_fmac_f32 v46, 0x3f5db3d7, v36
	v_fmac_f32_e32 v47, 0xbf5db3d7, v39
	v_fmamk_f32 v27, v51, 0x3f5db3d7, v1
	v_fmac_f32_e32 v1, 0xbf5db3d7, v51
	ds_store_2addr_b64 v151, v[2:3], v[16:17] offset1:225
	ds_store_b64 v151, v[4:5] offset:3600
	ds_store_2addr_b64 v176, v[6:7], v[18:19] offset1:225
	ds_store_b64 v176, v[22:23] offset:3600
	ds_store_2addr_b64 v173, v[8:9], v[20:21] offset0:16 offset1:241
	ds_store_b64 v151, v[10:11] offset:9360
	ds_store_2addr_b64 v174, v[12:13], v[24:25] offset1:225
	ds_store_b64 v174, v[46:47] offset:3600
	ds_store_2addr_b64 v175, v[14:15], v[26:27] offset0:6 offset1:231
	ds_store_b64 v172, v[0:1] offset:14400
	global_wb scope:SCOPE_SE
	s_wait_dscnt 0x0
	s_barrier_signal -1
	s_barrier_wait -1
	global_inv scope:SCOPE_SE
	ds_load_2addr_b64 v[6:9], v158 offset0:28 offset1:163
	ds_load_2addr_b64 v[10:13], v157 offset0:70 offset1:205
	;; [unrolled: 1-line block ×5, first 2 shown]
	ds_load_2addr_b64 v[26:29], v151 offset1:135
	ds_load_b64 v[34:35], v151 offset:15120
	ds_load_2addr_b64 v[30:33], v154 offset0:14 offset1:149
	v_add_co_u32 v0, vcc_lo, v52, v48
	s_wait_alu 0xfffd
	v_add_co_ci_u32_e32 v1, vcc_lo, v53, v49, vcc_lo
	s_wait_alu 0xfffe
	s_delay_alu instid0(VALU_DEP_2) | instskip(SKIP_1) | instid1(VALU_DEP_2)
	v_add_co_u32 v2, vcc_lo, v0, s0
	s_wait_alu 0xfffd
	v_add_co_ci_u32_e32 v3, vcc_lo, s1, v1, vcc_lo
	s_delay_alu instid0(VALU_DEP_2) | instskip(SKIP_1) | instid1(VALU_DEP_2)
	v_add_co_u32 v4, vcc_lo, v2, s0
	s_wait_alu 0xfffd
	v_add_co_ci_u32_e32 v5, vcc_lo, s1, v3, vcc_lo
	s_wait_dscnt 0x7
	v_mul_f32_e32 v36, v69, v9
	s_wait_dscnt 0x6
	v_mul_f32_e32 v38, v71, v11
	;; [unrolled: 2-line block ×5, first 2 shown]
	v_mul_f32_e32 v40, v73, v15
	v_mul_f32_e32 v48, v81, v23
	;; [unrolled: 1-line block ×3, first 2 shown]
	v_fmac_f32_e32 v36, v68, v8
	v_fmac_f32_e32 v44, v76, v16
	v_dual_fmac_f32 v46, v78, v18 :: v_dual_mul_f32 v37, v69, v8
	v_dual_fmac_f32 v52, v84, v24 :: v_dual_mul_f32 v39, v71, v10
	v_dual_mul_f32 v42, v75, v13 :: v_dual_mul_f32 v49, v81, v22
	s_wait_dscnt 0x1
	v_mul_f32_e32 v54, v87, v35
	v_fma_f32 v8, v68, v9, -v37
	v_fmac_f32_e32 v38, v70, v10
	v_fmac_f32_e32 v40, v72, v14
	;; [unrolled: 1-line block ×4, first 2 shown]
	v_mul_f32_e32 v45, v77, v16
	v_add_f32_e32 v16, v26, v36
	v_mul_f32_e32 v53, v85, v24
	v_add_f32_e32 v56, v6, v52
	v_fma_f32 v9, v70, v11, -v39
	v_mul_f32_e32 v41, v73, v14
	v_mul_f32_e32 v43, v75, v12
	v_fmac_f32_e32 v42, v74, v12
	v_fma_f32 v12, v80, v23, -v49
	v_fma_f32 v14, v84, v25, -v53
	v_mul_f32_e32 v47, v79, v18
	v_dual_fmac_f32 v54, v86, v34 :: v_dual_mul_f32 v51, v83, v20
	v_add_f32_e32 v22, v28, v40
	v_sub_f32_e32 v23, v8, v9
	v_mul_f32_e32 v55, v87, v34
	v_fma_f32 v10, v72, v15, -v41
	v_fma_f32 v15, v78, v19, -v47
	v_add_f32_e32 v57, v52, v54
	v_sub_f32_e32 v52, v52, v54
	v_fma_f32 v19, v82, v21, -v51
	v_fma_f32 v21, v86, v35, -v55
	s_wait_dscnt 0x0
	v_add_f32_e32 v47, v32, v48
	v_fma_f32 v6, -0.5, v57, v6
	v_dual_add_f32 v39, v30, v44 :: v_dual_add_f32 v20, v8, v9
	v_dual_sub_f32 v58, v14, v21 :: v_dual_sub_f32 v51, v12, v19
	v_add_f32_e32 v49, v48, v50
	v_sub_f32_e32 v48, v48, v50
	v_fma_f32 v11, v76, v17, -v45
	v_add_f32_e32 v18, v27, v8
	v_sub_f32_e32 v24, v36, v38
	v_fma_f32 v32, -0.5, v49, v32
	v_sub_f32_e32 v37, v40, v42
	v_sub_f32_e32 v41, v11, v15
	v_add_f32_e32 v25, v40, v42
	v_add_f32_e32 v40, v44, v46
	v_sub_f32_e32 v44, v44, v46
	v_fma_f32 v13, v74, v13, -v43
	v_add_f32_e32 v45, v11, v15
	v_fma_f32 v28, -0.5, v25, v28
	v_add_f32_e32 v8, v16, v38
	v_fma_f32 v16, -0.5, v40, v30
	v_dual_sub_f32 v34, v10, v13 :: v_dual_add_f32 v17, v36, v38
	v_dual_add_f32 v36, v10, v13 :: v_dual_add_f32 v43, v31, v11
	v_fma_f32 v11, -0.5, v20, v27
	v_add_f32_e32 v20, v56, v54
	v_add_f32_e32 v35, v29, v10
	v_fma_f32 v10, -0.5, v17, v26
	v_dual_add_f32 v55, v12, v19 :: v_dual_add_f32 v60, v14, v21
	v_dual_add_f32 v53, v33, v12 :: v_dual_add_f32 v12, v22, v42
	s_delay_alu instid0(VALU_DEP_3)
	v_dual_fmac_f32 v29, -0.5, v36 :: v_dual_fmamk_f32 v22, v23, 0xbf5db3d7, v10
	v_dual_fmac_f32 v10, 0x3f5db3d7, v23 :: v_dual_fmamk_f32 v23, v24, 0x3f5db3d7, v11
	v_dual_fmac_f32 v11, 0xbf5db3d7, v24 :: v_dual_fmamk_f32 v24, v34, 0xbf5db3d7, v28
	v_fmac_f32_e32 v28, 0x3f5db3d7, v34
	v_fmamk_f32 v34, v58, 0xbf5db3d7, v6
	v_fma_f32 v17, -0.5, v45, v31
	v_add_f32_e32 v59, v7, v14
	v_fmac_f32_e32 v33, -0.5, v55
	v_fmac_f32_e32 v7, -0.5, v60
	v_dual_add_f32 v9, v18, v9 :: v_dual_fmamk_f32 v26, v41, 0xbf5db3d7, v16
	v_fmac_f32_e32 v16, 0x3f5db3d7, v41
	v_add_f32_e32 v13, v35, v13
	v_dual_fmamk_f32 v27, v44, 0x3f5db3d7, v17 :: v_dual_fmac_f32 v6, 0x3f5db3d7, v58
	v_fmamk_f32 v30, v51, 0xbf5db3d7, v32
	v_fmamk_f32 v25, v37, 0x3f5db3d7, v29
	v_add_f32_e32 v15, v43, v15
	v_add_f32_e32 v18, v47, v50
	v_dual_add_f32 v14, v39, v46 :: v_dual_add_f32 v19, v53, v19
	v_add_f32_e32 v21, v59, v21
	v_fmac_f32_e32 v29, 0xbf5db3d7, v37
	v_fmac_f32_e32 v17, 0xbf5db3d7, v44
	v_dual_fmac_f32 v32, 0x3f5db3d7, v51 :: v_dual_fmamk_f32 v31, v48, 0x3f5db3d7, v33
	v_fmac_f32_e32 v33, 0xbf5db3d7, v48
	v_fmamk_f32 v35, v52, 0x3f5db3d7, v7
	v_fmac_f32_e32 v7, 0xbf5db3d7, v52
	ds_store_b64 v151, v[22:23] offset:5400
	ds_store_b64 v151, v[10:11] offset:10800
	ds_store_2addr_b64 v151, v[8:9], v[12:13] offset1:135
	ds_store_2addr_b64 v156, v[24:25], v[26:27] offset0:42 offset1:177
	ds_store_2addr_b64 v160, v[28:29], v[16:17] offset0:77 offset1:212
	;; [unrolled: 1-line block ×3, first 2 shown]
	ds_store_b64 v151, v[20:21] offset:4320
	ds_store_2addr_b64 v153, v[30:31], v[34:35] offset0:56 offset1:191
	ds_store_2addr_b64 v159, v[32:33], v[6:7] offset0:91 offset1:226
	global_wb scope:SCOPE_SE
	s_wait_dscnt 0x0
	s_barrier_signal -1
	s_barrier_wait -1
	global_inv scope:SCOPE_SE
	ds_load_2addr_b64 v[6:9], v151 offset1:135
	ds_load_2addr_b64 v[10:13], v158 offset0:28 offset1:163
	ds_load_2addr_b64 v[14:17], v157 offset0:70 offset1:205
	;; [unrolled: 1-line block ×6, first 2 shown]
	ds_load_b64 v[40:41], v151 offset:15120
	v_add_co_u32 v34, vcc_lo, v4, s2
	s_wait_alu 0xfffd
	v_add_co_ci_u32_e32 v35, vcc_lo, s3, v5, vcc_lo
	s_delay_alu instid0(VALU_DEP_2) | instskip(SKIP_1) | instid1(VALU_DEP_2)
	v_add_co_u32 v36, vcc_lo, v34, s0
	s_wait_alu 0xfffd
	v_add_co_ci_u32_e32 v37, vcc_lo, s1, v35, vcc_lo
	s_delay_alu instid0(VALU_DEP_2) | instskip(SKIP_1) | instid1(VALU_DEP_2)
	v_add_co_u32 v38, vcc_lo, v36, s0
	s_wait_alu 0xfffd
	v_add_co_ci_u32_e32 v39, vcc_lo, s1, v37, vcc_lo
	s_wait_dscnt 0x7
	v_mul_f32_e32 v42, v135, v7
	v_dual_mul_f32 v48, v133, v9 :: v_dual_mul_f32 v43, v135, v6
	s_wait_dscnt 0x6
	v_mul_f32_e32 v44, v145, v13
	s_wait_dscnt 0x1
	v_dual_mul_f32 v62, v127, v31 :: v_dual_mul_f32 v45, v145, v12
	v_mul_f32_e32 v46, v125, v15
	v_mul_f32_e32 v56, v121, v21
	;; [unrolled: 1-line block ×4, first 2 shown]
	v_dual_mul_f32 v49, v133, v8 :: v_dual_mul_f32 v50, v143, v19
	v_dual_mul_f32 v60, v129, v25 :: v_dual_mul_f32 v51, v143, v18
	v_mul_f32_e32 v52, v123, v17
	v_dual_mul_f32 v53, v123, v16 :: v_dual_fmac_f32 v42, v134, v6
	s_delay_alu instid0(VALU_DEP_3)
	v_fmac_f32_e32 v60, v128, v24
	v_fmac_f32_e32 v48, v132, v8
	v_fma_f32 v43, v134, v7, -v43
	v_dual_mul_f32 v54, v131, v23 :: v_dual_mul_f32 v57, v121, v20
	v_mul_f32_e32 v61, v129, v24
	v_dual_mul_f32 v64, v137, v29 :: v_dual_mul_f32 v55, v131, v22
	v_mul_f32_e32 v65, v137, v28
	v_dual_mul_f32 v67, v141, v10 :: v_dual_mul_f32 v68, v147, v33
	s_delay_alu instid0(VALU_DEP_3)
	v_dual_fmac_f32 v64, v136, v28 :: v_dual_mul_f32 v59, v139, v26
	s_wait_dscnt 0x0
	v_dual_mul_f32 v70, v149, v41 :: v_dual_mul_f32 v63, v127, v30
	v_fmac_f32_e32 v44, v144, v12
	v_fmac_f32_e32 v62, v126, v30
	v_fma_f32 v12, v144, v13, -v45
	s_delay_alu instid0(VALU_DEP_4)
	v_fmac_f32_e32 v70, v148, v40
	v_fmac_f32_e32 v46, v124, v14
	;; [unrolled: 1-line block ×3, first 2 shown]
	v_fma_f32 v45, v124, v15, -v47
	v_mul_f32_e32 v58, v139, v27
	v_fmac_f32_e32 v66, v140, v10
	v_fma_f32 v47, v132, v9, -v49
	v_fmac_f32_e32 v50, v142, v18
	v_fma_f32 v49, v142, v19, -v51
	;; [unrolled: 2-line block ×3, first 2 shown]
	v_cvt_f64_f32_e32 v[6:7], v42
	v_cvt_f64_f32_e32 v[8:9], v43
	v_dual_mul_f32 v69, v147, v32 :: v_dual_fmac_f32 v54, v130, v22
	v_fma_f32 v53, v130, v23, -v55
	v_fma_f32 v55, v120, v21, -v57
	v_fmac_f32_e32 v68, v146, v32
	v_fma_f32 v57, v138, v27, -v59
	v_fma_f32 v59, v128, v25, -v61
	;; [unrolled: 1-line block ×5, first 2 shown]
	v_cvt_f64_f32_e32 v[10:11], v44
	v_cvt_f64_f32_e32 v[12:13], v12
	v_mul_f32_e32 v71, v149, v40
	v_cvt_f64_f32_e32 v[14:15], v46
	v_cvt_f64_f32_e32 v[16:17], v45
	v_fmac_f32_e32 v58, v138, v26
	v_cvt_f64_f32_e32 v[18:19], v48
	v_cvt_f64_f32_e32 v[20:21], v47
	v_cvt_f64_f32_e32 v[22:23], v50
	v_cvt_f64_f32_e32 v[24:25], v49
	v_cvt_f64_f32_e32 v[26:27], v52
	v_cvt_f64_f32_e32 v[28:29], v51
	v_fma_f32 v67, v146, v33, -v69
	v_cvt_f64_f32_e32 v[30:31], v54
	v_cvt_f64_f32_e32 v[32:33], v53
	v_fma_f32 v71, v148, v41, -v71
	v_cvt_f64_f32_e32 v[40:41], v56
	v_cvt_f64_f32_e32 v[42:43], v55
	;; [unrolled: 1-line block ×16, first 2 shown]
	v_mul_f64_e32 v[6:7], s[4:5], v[6:7]
	v_mul_f64_e32 v[8:9], s[4:5], v[8:9]
	v_add_co_u32 v72, vcc_lo, v38, s2
	s_wait_alu 0xfffd
	v_add_co_ci_u32_e32 v73, vcc_lo, s3, v39, vcc_lo
	v_mul_f64_e32 v[10:11], s[4:5], v[10:11]
	v_mul_f64_e32 v[12:13], s[4:5], v[12:13]
	v_add_co_u32 v74, vcc_lo, v72, s0
	v_mul_f64_e32 v[14:15], s[4:5], v[14:15]
	v_mul_f64_e32 v[16:17], s[4:5], v[16:17]
	;; [unrolled: 1-line block ×8, first 2 shown]
	s_wait_alu 0xfffd
	v_add_co_ci_u32_e32 v75, vcc_lo, s1, v73, vcc_lo
	v_mul_f64_e32 v[30:31], s[4:5], v[30:31]
	v_mul_f64_e32 v[32:33], s[4:5], v[32:33]
	;; [unrolled: 1-line block ×18, first 2 shown]
	v_cvt_f32_f64_e32 v6, v[6:7]
	v_cvt_f32_f64_e32 v7, v[8:9]
	v_add_co_u32 v76, vcc_lo, v74, s0
	s_wait_alu 0xfffd
	v_add_co_ci_u32_e32 v77, vcc_lo, s1, v75, vcc_lo
	v_cvt_f32_f64_e32 v8, v[10:11]
	v_cvt_f32_f64_e32 v9, v[12:13]
	v_add_co_u32 v78, vcc_lo, v76, s2
	v_cvt_f32_f64_e32 v10, v[14:15]
	v_cvt_f32_f64_e32 v11, v[16:17]
	;; [unrolled: 1-line block ×8, first 2 shown]
	s_wait_alu 0xfffd
	v_add_co_ci_u32_e32 v79, vcc_lo, s3, v77, vcc_lo
	v_cvt_f32_f64_e32 v18, v[30:31]
	v_cvt_f32_f64_e32 v19, v[32:33]
	v_cvt_f32_f64_e32 v20, v[40:41]
	v_cvt_f32_f64_e32 v21, v[42:43]
	v_cvt_f32_f64_e32 v22, v[44:45]
	v_cvt_f32_f64_e32 v23, v[46:47]
	v_cvt_f32_f64_e32 v24, v[48:49]
	v_cvt_f32_f64_e32 v25, v[50:51]
	v_cvt_f32_f64_e32 v26, v[52:53]
	v_cvt_f32_f64_e32 v27, v[54:55]
	v_cvt_f32_f64_e32 v28, v[56:57]
	v_cvt_f32_f64_e32 v29, v[58:59]
	v_cvt_f32_f64_e32 v30, v[60:61]
	v_cvt_f32_f64_e32 v31, v[62:63]
	v_cvt_f32_f64_e32 v32, v[64:65]
	v_cvt_f32_f64_e32 v33, v[66:67]
	v_cvt_f32_f64_e32 v40, v[68:69]
	v_cvt_f32_f64_e32 v41, v[70:71]
	v_add_co_u32 v42, vcc_lo, v78, s0
	s_wait_alu 0xfffd
	v_add_co_ci_u32_e32 v43, vcc_lo, s1, v79, vcc_lo
	s_delay_alu instid0(VALU_DEP_2) | instskip(SKIP_1) | instid1(VALU_DEP_2)
	v_add_co_u32 v44, vcc_lo, v42, s0
	s_wait_alu 0xfffd
	v_add_co_ci_u32_e32 v45, vcc_lo, s1, v43, vcc_lo
	s_delay_alu instid0(VALU_DEP_2) | instskip(SKIP_1) | instid1(VALU_DEP_2)
	;; [unrolled: 4-line block ×4, first 2 shown]
	v_add_co_u32 v50, vcc_lo, v48, s0
	s_wait_alu 0xfffd
	v_add_co_ci_u32_e32 v51, vcc_lo, s1, v49, vcc_lo
	s_clause 0x4
	global_store_b64 v[0:1], v[6:7], off
	global_store_b64 v[2:3], v[8:9], off
	;; [unrolled: 1-line block ×15, first 2 shown]
.LBB0_2:
	s_nop 0
	s_sendmsg sendmsg(MSG_DEALLOC_VGPRS)
	s_endpgm
	.section	.rodata,"a",@progbits
	.p2align	6, 0x0
	.amdhsa_kernel bluestein_single_back_len2025_dim1_sp_op_CI_CI
		.amdhsa_group_segment_fixed_size 16200
		.amdhsa_private_segment_fixed_size 0
		.amdhsa_kernarg_size 104
		.amdhsa_user_sgpr_count 2
		.amdhsa_user_sgpr_dispatch_ptr 0
		.amdhsa_user_sgpr_queue_ptr 0
		.amdhsa_user_sgpr_kernarg_segment_ptr 1
		.amdhsa_user_sgpr_dispatch_id 0
		.amdhsa_user_sgpr_private_segment_size 0
		.amdhsa_wavefront_size32 1
		.amdhsa_uses_dynamic_stack 0
		.amdhsa_enable_private_segment 0
		.amdhsa_system_sgpr_workgroup_id_x 1
		.amdhsa_system_sgpr_workgroup_id_y 0
		.amdhsa_system_sgpr_workgroup_id_z 0
		.amdhsa_system_sgpr_workgroup_info 0
		.amdhsa_system_vgpr_workitem_id 0
		.amdhsa_next_free_vgpr 216
		.amdhsa_next_free_sgpr 20
		.amdhsa_reserve_vcc 1
		.amdhsa_float_round_mode_32 0
		.amdhsa_float_round_mode_16_64 0
		.amdhsa_float_denorm_mode_32 3
		.amdhsa_float_denorm_mode_16_64 3
		.amdhsa_fp16_overflow 0
		.amdhsa_workgroup_processor_mode 1
		.amdhsa_memory_ordered 1
		.amdhsa_forward_progress 0
		.amdhsa_round_robin_scheduling 0
		.amdhsa_exception_fp_ieee_invalid_op 0
		.amdhsa_exception_fp_denorm_src 0
		.amdhsa_exception_fp_ieee_div_zero 0
		.amdhsa_exception_fp_ieee_overflow 0
		.amdhsa_exception_fp_ieee_underflow 0
		.amdhsa_exception_fp_ieee_inexact 0
		.amdhsa_exception_int_div_zero 0
	.end_amdhsa_kernel
	.text
.Lfunc_end0:
	.size	bluestein_single_back_len2025_dim1_sp_op_CI_CI, .Lfunc_end0-bluestein_single_back_len2025_dim1_sp_op_CI_CI
                                        ; -- End function
	.section	.AMDGPU.csdata,"",@progbits
; Kernel info:
; codeLenInByte = 16816
; NumSgprs: 22
; NumVgprs: 216
; ScratchSize: 0
; MemoryBound: 0
; FloatMode: 240
; IeeeMode: 1
; LDSByteSize: 16200 bytes/workgroup (compile time only)
; SGPRBlocks: 2
; VGPRBlocks: 26
; NumSGPRsForWavesPerEU: 22
; NumVGPRsForWavesPerEU: 216
; Occupancy: 7
; WaveLimiterHint : 1
; COMPUTE_PGM_RSRC2:SCRATCH_EN: 0
; COMPUTE_PGM_RSRC2:USER_SGPR: 2
; COMPUTE_PGM_RSRC2:TRAP_HANDLER: 0
; COMPUTE_PGM_RSRC2:TGID_X_EN: 1
; COMPUTE_PGM_RSRC2:TGID_Y_EN: 0
; COMPUTE_PGM_RSRC2:TGID_Z_EN: 0
; COMPUTE_PGM_RSRC2:TIDIG_COMP_CNT: 0
	.text
	.p2alignl 7, 3214868480
	.fill 96, 4, 3214868480
	.type	__hip_cuid_875abca46326356f,@object ; @__hip_cuid_875abca46326356f
	.section	.bss,"aw",@nobits
	.globl	__hip_cuid_875abca46326356f
__hip_cuid_875abca46326356f:
	.byte	0                               ; 0x0
	.size	__hip_cuid_875abca46326356f, 1

	.ident	"AMD clang version 19.0.0git (https://github.com/RadeonOpenCompute/llvm-project roc-6.4.0 25133 c7fe45cf4b819c5991fe208aaa96edf142730f1d)"
	.section	".note.GNU-stack","",@progbits
	.addrsig
	.addrsig_sym __hip_cuid_875abca46326356f
	.amdgpu_metadata
---
amdhsa.kernels:
  - .args:
      - .actual_access:  read_only
        .address_space:  global
        .offset:         0
        .size:           8
        .value_kind:     global_buffer
      - .actual_access:  read_only
        .address_space:  global
        .offset:         8
        .size:           8
        .value_kind:     global_buffer
      - .actual_access:  read_only
        .address_space:  global
        .offset:         16
        .size:           8
        .value_kind:     global_buffer
      - .actual_access:  read_only
        .address_space:  global
        .offset:         24
        .size:           8
        .value_kind:     global_buffer
      - .actual_access:  read_only
        .address_space:  global
        .offset:         32
        .size:           8
        .value_kind:     global_buffer
      - .offset:         40
        .size:           8
        .value_kind:     by_value
      - .address_space:  global
        .offset:         48
        .size:           8
        .value_kind:     global_buffer
      - .address_space:  global
        .offset:         56
        .size:           8
        .value_kind:     global_buffer
      - .address_space:  global
        .offset:         64
        .size:           8
        .value_kind:     global_buffer
      - .address_space:  global
        .offset:         72
        .size:           8
        .value_kind:     global_buffer
      - .offset:         80
        .size:           4
        .value_kind:     by_value
      - .address_space:  global
        .offset:         88
        .size:           8
        .value_kind:     global_buffer
      - .address_space:  global
        .offset:         96
        .size:           8
        .value_kind:     global_buffer
    .group_segment_fixed_size: 16200
    .kernarg_segment_align: 8
    .kernarg_segment_size: 104
    .language:       OpenCL C
    .language_version:
      - 2
      - 0
    .max_flat_workgroup_size: 135
    .name:           bluestein_single_back_len2025_dim1_sp_op_CI_CI
    .private_segment_fixed_size: 0
    .sgpr_count:     22
    .sgpr_spill_count: 0
    .symbol:         bluestein_single_back_len2025_dim1_sp_op_CI_CI.kd
    .uniform_work_group_size: 1
    .uses_dynamic_stack: false
    .vgpr_count:     216
    .vgpr_spill_count: 0
    .wavefront_size: 32
    .workgroup_processor_mode: 1
amdhsa.target:   amdgcn-amd-amdhsa--gfx1201
amdhsa.version:
  - 1
  - 2
...

	.end_amdgpu_metadata
